;; amdgpu-corpus repo=ROCm/rocFFT kind=compiled arch=gfx950 opt=O3
	.text
	.amdgcn_target "amdgcn-amd-amdhsa--gfx950"
	.amdhsa_code_object_version 6
	.protected	fft_rtc_fwd_len1638_factors_13_2_3_7_3_wgs_182_tpt_182_halfLds_sp_op_CI_CI_unitstride_sbrr_R2C_dirReg ; -- Begin function fft_rtc_fwd_len1638_factors_13_2_3_7_3_wgs_182_tpt_182_halfLds_sp_op_CI_CI_unitstride_sbrr_R2C_dirReg
	.globl	fft_rtc_fwd_len1638_factors_13_2_3_7_3_wgs_182_tpt_182_halfLds_sp_op_CI_CI_unitstride_sbrr_R2C_dirReg
	.p2align	8
	.type	fft_rtc_fwd_len1638_factors_13_2_3_7_3_wgs_182_tpt_182_halfLds_sp_op_CI_CI_unitstride_sbrr_R2C_dirReg,@function
fft_rtc_fwd_len1638_factors_13_2_3_7_3_wgs_182_tpt_182_halfLds_sp_op_CI_CI_unitstride_sbrr_R2C_dirReg: ; @fft_rtc_fwd_len1638_factors_13_2_3_7_3_wgs_182_tpt_182_halfLds_sp_op_CI_CI_unitstride_sbrr_R2C_dirReg
; %bb.0:
	s_load_dwordx4 s[4:7], s[0:1], 0x58
	s_load_dwordx4 s[8:11], s[0:1], 0x0
	;; [unrolled: 1-line block ×3, first 2 shown]
	v_mul_u32_u24_e32 v1, 0x169, v0
	v_add_u32_sdwa v6, s2, v1 dst_sel:DWORD dst_unused:UNUSED_PAD src0_sel:DWORD src1_sel:WORD_1
	v_mov_b32_e32 v4, 0
	s_waitcnt lgkmcnt(0)
	v_cmp_lt_u64_e64 s[2:3], s[10:11], 2
	v_mov_b32_e32 v7, v4
	s_and_b64 vcc, exec, s[2:3]
	v_mov_b64_e32 v[2:3], 0
	s_cbranch_vccnz .LBB0_8
; %bb.1:
	s_load_dwordx2 s[2:3], s[0:1], 0x10
	s_add_u32 s16, s14, 8
	s_addc_u32 s17, s15, 0
	s_add_u32 s18, s12, 8
	s_addc_u32 s19, s13, 0
	s_waitcnt lgkmcnt(0)
	s_add_u32 s20, s2, 8
	v_mov_b64_e32 v[2:3], 0
	s_addc_u32 s21, s3, 0
	s_mov_b64 s[22:23], 1
	v_mov_b64_e32 v[30:31], v[2:3]
.LBB0_2:                                ; =>This Inner Loop Header: Depth=1
	s_load_dwordx2 s[24:25], s[20:21], 0x0
                                        ; implicit-def: $vgpr32_vgpr33
	s_waitcnt lgkmcnt(0)
	v_or_b32_e32 v5, s25, v7
	v_cmp_ne_u64_e32 vcc, 0, v[4:5]
	s_and_saveexec_b64 s[2:3], vcc
	s_xor_b64 s[26:27], exec, s[2:3]
	s_cbranch_execz .LBB0_4
; %bb.3:                                ;   in Loop: Header=BB0_2 Depth=1
	v_cvt_f32_u32_e32 v1, s24
	v_cvt_f32_u32_e32 v5, s25
	s_sub_u32 s2, 0, s24
	s_subb_u32 s3, 0, s25
	v_fmac_f32_e32 v1, 0x4f800000, v5
	v_rcp_f32_e32 v1, v1
	s_nop 0
	v_mul_f32_e32 v1, 0x5f7ffffc, v1
	v_mul_f32_e32 v5, 0x2f800000, v1
	v_trunc_f32_e32 v5, v5
	v_fmac_f32_e32 v1, 0xcf800000, v5
	v_cvt_u32_f32_e32 v5, v5
	v_cvt_u32_f32_e32 v1, v1
	v_mul_lo_u32 v8, s2, v5
	v_mul_hi_u32 v10, s2, v1
	v_mul_lo_u32 v9, s3, v1
	v_add_u32_e32 v10, v10, v8
	v_mul_lo_u32 v12, s2, v1
	v_add_u32_e32 v13, v10, v9
	v_mul_hi_u32 v8, v1, v12
	v_mul_hi_u32 v11, v1, v13
	v_mul_lo_u32 v10, v1, v13
	v_mov_b32_e32 v9, v4
	v_lshl_add_u64 v[8:9], v[8:9], 0, v[10:11]
	v_mul_hi_u32 v11, v5, v12
	v_mul_lo_u32 v12, v5, v12
	v_add_co_u32_e32 v8, vcc, v8, v12
	v_mul_hi_u32 v10, v5, v13
	s_nop 0
	v_addc_co_u32_e32 v8, vcc, v9, v11, vcc
	v_mov_b32_e32 v9, v4
	s_nop 0
	v_addc_co_u32_e32 v11, vcc, 0, v10, vcc
	v_mul_lo_u32 v10, v5, v13
	v_lshl_add_u64 v[8:9], v[8:9], 0, v[10:11]
	v_add_co_u32_e32 v1, vcc, v1, v8
	v_mul_lo_u32 v10, s2, v1
	s_nop 0
	v_addc_co_u32_e32 v5, vcc, v5, v9, vcc
	v_mul_lo_u32 v8, s2, v5
	v_mul_hi_u32 v9, s2, v1
	v_add_u32_e32 v8, v9, v8
	v_mul_lo_u32 v9, s3, v1
	v_add_u32_e32 v12, v8, v9
	v_mul_hi_u32 v14, v5, v10
	v_mul_lo_u32 v15, v5, v10
	v_mul_hi_u32 v9, v1, v12
	v_mul_lo_u32 v8, v1, v12
	v_mul_hi_u32 v10, v1, v10
	v_mov_b32_e32 v11, v4
	v_lshl_add_u64 v[8:9], v[10:11], 0, v[8:9]
	v_add_co_u32_e32 v8, vcc, v8, v15
	v_mul_hi_u32 v13, v5, v12
	s_nop 0
	v_addc_co_u32_e32 v8, vcc, v9, v14, vcc
	v_mul_lo_u32 v10, v5, v12
	s_nop 0
	v_addc_co_u32_e32 v11, vcc, 0, v13, vcc
	v_mov_b32_e32 v9, v4
	v_lshl_add_u64 v[8:9], v[8:9], 0, v[10:11]
	v_add_co_u32_e32 v1, vcc, v1, v8
	v_mul_hi_u32 v10, v6, v1
	s_nop 0
	v_addc_co_u32_e32 v5, vcc, v5, v9, vcc
	v_mad_u64_u32 v[8:9], s[2:3], v6, v5, 0
	v_mov_b32_e32 v11, v4
	v_lshl_add_u64 v[8:9], v[10:11], 0, v[8:9]
	v_mad_u64_u32 v[12:13], s[2:3], v7, v1, 0
	v_add_co_u32_e32 v1, vcc, v8, v12
	v_mad_u64_u32 v[10:11], s[2:3], v7, v5, 0
	s_nop 0
	v_addc_co_u32_e32 v8, vcc, v9, v13, vcc
	v_mov_b32_e32 v9, v4
	s_nop 0
	v_addc_co_u32_e32 v11, vcc, 0, v11, vcc
	v_lshl_add_u64 v[8:9], v[8:9], 0, v[10:11]
	v_mul_lo_u32 v1, s25, v8
	v_mul_lo_u32 v5, s24, v9
	v_mad_u64_u32 v[10:11], s[2:3], s24, v8, 0
	v_add3_u32 v1, v11, v5, v1
	v_sub_u32_e32 v5, v7, v1
	v_mov_b32_e32 v11, s25
	v_sub_co_u32_e32 v14, vcc, v6, v10
	v_lshl_add_u64 v[12:13], v[8:9], 0, 1
	s_nop 0
	v_subb_co_u32_e64 v5, s[2:3], v5, v11, vcc
	v_subrev_co_u32_e64 v10, s[2:3], s24, v14
	v_subb_co_u32_e32 v1, vcc, v7, v1, vcc
	s_nop 0
	v_subbrev_co_u32_e64 v5, s[2:3], 0, v5, s[2:3]
	v_cmp_le_u32_e64 s[2:3], s25, v5
	v_cmp_le_u32_e32 vcc, s25, v1
	s_nop 0
	v_cndmask_b32_e64 v11, 0, -1, s[2:3]
	v_cmp_le_u32_e64 s[2:3], s24, v10
	s_nop 1
	v_cndmask_b32_e64 v10, 0, -1, s[2:3]
	v_cmp_eq_u32_e64 s[2:3], s25, v5
	s_nop 1
	v_cndmask_b32_e64 v5, v11, v10, s[2:3]
	v_lshl_add_u64 v[10:11], v[8:9], 0, 2
	v_cmp_ne_u32_e64 s[2:3], 0, v5
	s_nop 1
	v_cndmask_b32_e64 v5, v13, v11, s[2:3]
	v_cndmask_b32_e64 v11, 0, -1, vcc
	v_cmp_le_u32_e32 vcc, s24, v14
	s_nop 1
	v_cndmask_b32_e64 v13, 0, -1, vcc
	v_cmp_eq_u32_e32 vcc, s25, v1
	s_nop 1
	v_cndmask_b32_e32 v1, v11, v13, vcc
	v_cmp_ne_u32_e32 vcc, 0, v1
	v_cndmask_b32_e64 v1, v12, v10, s[2:3]
	s_nop 0
	v_cndmask_b32_e32 v33, v9, v5, vcc
	v_cndmask_b32_e32 v32, v8, v1, vcc
.LBB0_4:                                ;   in Loop: Header=BB0_2 Depth=1
	s_andn2_saveexec_b64 s[2:3], s[26:27]
	s_cbranch_execz .LBB0_6
; %bb.5:                                ;   in Loop: Header=BB0_2 Depth=1
	v_cvt_f32_u32_e32 v1, s24
	s_sub_i32 s26, 0, s24
	v_mov_b32_e32 v33, v4
	v_rcp_iflag_f32_e32 v1, v1
	s_nop 0
	v_mul_f32_e32 v1, 0x4f7ffffe, v1
	v_cvt_u32_f32_e32 v1, v1
	v_mul_lo_u32 v5, s26, v1
	v_mul_hi_u32 v5, v1, v5
	v_add_u32_e32 v1, v1, v5
	v_mul_hi_u32 v1, v6, v1
	v_mul_lo_u32 v5, v1, s24
	v_sub_u32_e32 v5, v6, v5
	v_add_u32_e32 v8, 1, v1
	v_subrev_u32_e32 v9, s24, v5
	v_cmp_le_u32_e32 vcc, s24, v5
	s_nop 1
	v_cndmask_b32_e32 v5, v5, v9, vcc
	v_cndmask_b32_e32 v1, v1, v8, vcc
	v_add_u32_e32 v8, 1, v1
	v_cmp_le_u32_e32 vcc, s24, v5
	s_nop 1
	v_cndmask_b32_e32 v32, v1, v8, vcc
.LBB0_6:                                ;   in Loop: Header=BB0_2 Depth=1
	s_or_b64 exec, exec, s[2:3]
	v_mad_u64_u32 v[8:9], s[2:3], v32, s24, 0
	s_load_dwordx2 s[2:3], s[18:19], 0x0
	v_mul_lo_u32 v1, v33, s24
	v_mul_lo_u32 v5, v32, s25
	s_load_dwordx2 s[24:25], s[16:17], 0x0
	s_add_u32 s22, s22, 1
	v_add3_u32 v1, v9, v5, v1
	v_sub_co_u32_e32 v5, vcc, v6, v8
	s_addc_u32 s23, s23, 0
	s_nop 0
	v_subb_co_u32_e32 v1, vcc, v7, v1, vcc
	s_add_u32 s16, s16, 8
	s_waitcnt lgkmcnt(0)
	v_mul_lo_u32 v6, s2, v1
	v_mul_lo_u32 v7, s3, v5
	v_mad_u64_u32 v[2:3], s[2:3], s2, v5, v[2:3]
	s_addc_u32 s17, s17, 0
	v_add3_u32 v3, v7, v3, v6
	v_mul_lo_u32 v1, s24, v1
	v_mul_lo_u32 v6, s25, v5
	v_mad_u64_u32 v[30:31], s[2:3], s24, v5, v[30:31]
	s_add_u32 s18, s18, 8
	v_add3_u32 v31, v6, v31, v1
	s_addc_u32 s19, s19, 0
	v_mov_b64_e32 v[6:7], s[10:11]
	s_add_u32 s20, s20, 8
	v_cmp_ge_u64_e32 vcc, s[22:23], v[6:7]
	s_addc_u32 s21, s21, 0
	s_cbranch_vccnz .LBB0_9
; %bb.7:                                ;   in Loop: Header=BB0_2 Depth=1
	v_mov_b64_e32 v[6:7], v[32:33]
	s_branch .LBB0_2
.LBB0_8:
	v_mov_b64_e32 v[30:31], v[2:3]
	v_mov_b64_e32 v[32:33], v[6:7]
.LBB0_9:
	s_load_dwordx2 s[18:19], s[0:1], 0x28
	s_lshl_b64 s[16:17], s[10:11], 3
	s_add_u32 s2, s14, s16
	s_addc_u32 s3, s15, s17
                                        ; implicit-def: $vgpr34
	s_waitcnt lgkmcnt(0)
	v_cmp_gt_u64_e64 s[0:1], s[18:19], v[32:33]
	v_cmp_le_u64_e32 vcc, s[18:19], v[32:33]
	s_and_saveexec_b64 s[10:11], vcc
	s_xor_b64 s[10:11], exec, s[10:11]
; %bb.10:
	s_mov_b32 s14, 0x1681682
	v_mul_hi_u32 v1, v0, s14
	v_mul_u32_u24_e32 v1, 0xb6, v1
	v_sub_u32_e32 v34, v0, v1
                                        ; implicit-def: $vgpr0
                                        ; implicit-def: $vgpr2_vgpr3
; %bb.11:
	s_andn2_saveexec_b64 s[10:11], s[10:11]
	s_cbranch_execz .LBB0_13
; %bb.12:
	s_add_u32 s12, s12, s16
	s_addc_u32 s13, s13, s17
	s_load_dwordx2 s[12:13], s[12:13], 0x0
	s_mov_b32 s14, 0x1681682
	s_waitcnt lgkmcnt(0)
	v_mul_lo_u32 v1, s13, v32
	v_mul_lo_u32 v6, s12, v33
	v_mad_u64_u32 v[4:5], s[12:13], s12, v32, 0
	v_add3_u32 v5, v5, v6, v1
	v_mul_hi_u32 v1, v0, s14
	v_mul_u32_u24_e32 v1, 0xb6, v1
	v_sub_u32_e32 v34, v0, v1
	v_lshl_add_u64 v[0:1], v[4:5], 3, s[4:5]
	v_lshl_add_u64 v[0:1], v[2:3], 3, v[0:1]
	v_lshlrev_b32_e32 v2, 3, v34
	v_mov_b32_e32 v3, 0
	v_lshl_add_u64 v[0:1], v[0:1], 0, v[2:3]
	s_movk_i32 s4, 0x1000
	v_add_co_u32_e32 v4, vcc, s4, v0
	s_nop 1
	v_addc_co_u32_e32 v5, vcc, 0, v1, vcc
	global_load_dwordx2 v[6:7], v[0:1], off
	global_load_dwordx2 v[8:9], v[0:1], off offset:1456
	global_load_dwordx2 v[10:11], v[0:1], off offset:2912
	;; [unrolled: 1-line block ×3, first 2 shown]
	v_add_co_u32_e32 v0, vcc, 0x2000, v0
	s_nop 1
	v_addc_co_u32_e32 v1, vcc, 0, v1, vcc
	global_load_dwordx2 v[14:15], v[4:5], off offset:1728
	global_load_dwordx2 v[16:17], v[4:5], off offset:3184
	;; [unrolled: 1-line block ×5, first 2 shown]
	v_add_u32_e32 v0, 0, v2
	v_add_u32_e32 v1, 0xa00, v0
	;; [unrolled: 1-line block ×4, first 2 shown]
	s_waitcnt vmcnt(7)
	ds_write2_b64 v0, v[6:7], v[8:9] offset1:182
	s_waitcnt vmcnt(5)
	ds_write2_b64 v1, v[10:11], v[12:13] offset0:44 offset1:226
	s_waitcnt vmcnt(3)
	ds_write2_b64 v2, v[14:15], v[16:17] offset0:24 offset1:206
	;; [unrolled: 2-line block ×3, first 2 shown]
	s_waitcnt vmcnt(0)
	ds_write_b64 v0, v[22:23] offset:11648
.LBB0_13:
	s_or_b64 exec, exec, s[10:11]
	v_lshl_add_u32 v186, v34, 3, 0
	s_waitcnt lgkmcnt(0)
	s_barrier
	ds_read2_b64 v[6:9], v186 offset1:126
	ds_read_b64 v[80:81], v186 offset:12096
	v_add_u32_e32 v0, 0x400, v186
	v_add_u32_e32 v35, 0x2400, v186
	ds_read2_b64 v[22:25], v0 offset0:124 offset1:250
	ds_read2_b64 v[18:21], v35 offset0:108 offset1:234
	v_add_u32_e32 v0, 0xc00, v186
	ds_read2_b64 v[10:13], v0 offset0:120 offset1:246
	v_add_u32_e32 v0, 0x1c00, v186
	s_waitcnt lgkmcnt(3)
	v_pk_add_f32 v[44:45], v[8:9], v[80:81] neg_lo:[0,1] neg_hi:[0,1]
	s_mov_b32 s14, 0xbf29c268
	ds_read2_b64 v[14:17], v0 offset0:112 offset1:238
	v_pk_add_f32 v[0:1], v[80:81], v[8:9]
	s_mov_b32 s10, 0xbf3f9e67
	v_pk_mul_f32 v[2:3], v[44:45], s[14:15] op_sel_hi:[1,0]
	s_waitcnt lgkmcnt(2)
	v_pk_add_f32 v[48:49], v[22:23], v[20:21] neg_lo:[0,1] neg_hi:[0,1]
	s_mov_b32 s16, 0x3f7e222b
	v_pk_fma_f32 v[58:59], v[0:1], s[10:11], v[2:3] op_sel:[0,0,1] op_sel_hi:[1,0,0]
	v_pk_fma_f32 v[60:61], v[0:1], s[10:11], v[2:3] op_sel:[0,0,1] op_sel_hi:[1,0,0] neg_lo:[0,0,1] neg_hi:[0,0,1]
	v_pk_add_f32 v[40:41], v[20:21], v[22:23]
	s_mov_b32 s4, 0x3df6dbef
	v_pk_mul_f32 v[4:5], v[48:49], s[16:17] op_sel_hi:[1,0]
	v_mov_b32_e32 v2, v58
	v_mov_b32_e32 v3, v61
	v_pk_fma_f32 v[62:63], v[40:41], s[4:5], v[4:5] op_sel:[0,0,1] op_sel_hi:[1,0,0]
	v_pk_fma_f32 v[66:67], v[40:41], s[4:5], v[4:5] op_sel:[0,0,1] op_sel_hi:[1,0,0] neg_lo:[0,0,1] neg_hi:[0,0,1]
	v_pk_add_f32 v[2:3], v[6:7], v[2:3]
	v_mov_b32_e32 v4, v62
	v_mov_b32_e32 v5, v67
	v_pk_add_f32 v[54:55], v[24:25], v[18:19] neg_lo:[0,1] neg_hi:[0,1]
	s_mov_b32 s34, 0xbf52af12
	v_pk_add_f32 v[2:3], v[4:5], v[2:3]
	v_pk_add_f32 v[42:43], v[18:19], v[24:25]
	s_mov_b32 s12, 0x3f116cb1
	v_pk_mul_f32 v[4:5], v[54:55], s[34:35] op_sel_hi:[1,0]
	s_waitcnt lgkmcnt(0)
	v_pk_add_f32 v[56:57], v[10:11], v[16:17] neg_lo:[0,1] neg_hi:[0,1]
	v_pk_fma_f32 v[68:69], v[42:43], s[12:13], v[4:5] op_sel:[0,0,1] op_sel_hi:[1,0,0]
	v_pk_fma_f32 v[70:71], v[42:43], s[12:13], v[4:5] op_sel:[0,0,1] op_sel_hi:[1,0,0] neg_lo:[0,0,1] neg_hi:[0,0,1]
	v_mov_b32_e32 v4, v68
	v_mov_b32_e32 v5, v71
	s_mov_b32 s30, 0x3e750f2a
	v_pk_add_f32 v[2:3], v[4:5], v[2:3]
	v_pk_add_f32 v[46:47], v[16:17], v[10:11]
	s_mov_b32 s18, 0xbf788fa5
	v_pk_mul_f32 v[4:5], v[56:57], s[30:31] op_sel_hi:[1,0]
	s_mov_b32 s24, 0x3eedf032
	v_pk_fma_f32 v[72:73], v[46:47], s[18:19], v[4:5] op_sel:[0,0,1] op_sel_hi:[1,0,0]
	v_pk_fma_f32 v[74:75], v[46:47], s[18:19], v[4:5] op_sel:[0,0,1] op_sel_hi:[1,0,0] neg_lo:[0,0,1] neg_hi:[0,0,1]
	v_mov_b32_e32 v4, v72
	v_mov_b32_e32 v5, v75
	v_pk_add_f32 v[64:65], v[12:13], v[14:15] neg_lo:[0,1] neg_hi:[0,1]
	v_pk_add_f32 v[2:3], v[4:5], v[2:3]
	s_mov_b32 s20, 0x3f62ad3f
	v_pk_add_f32 v[50:51], v[14:15], v[12:13]
	v_pk_mul_f32 v[4:5], v[64:65], s[24:25] op_sel_hi:[1,0]
	s_mov_b32 s26, 0xbf6f5d39
	v_pk_fma_f32 v[76:77], v[50:51], s[20:21], v[4:5] op_sel:[0,0,1] op_sel_hi:[1,0,0]
	v_pk_fma_f32 v[78:79], v[50:51], s[20:21], v[4:5] op_sel:[0,0,1] op_sel_hi:[1,0,0] neg_lo:[0,0,1] neg_hi:[0,0,1]
	v_mov_b32_e32 v4, v76
	v_mov_b32_e32 v5, v79
	v_pk_add_f32 v[2:3], v[4:5], v[2:3]
	v_pk_mul_f32 v[4:5], v[44:45], s[34:35] op_sel_hi:[1,0]
	s_mov_b32 s22, 0xbeb58ec6
	v_pk_fma_f32 v[82:83], v[0:1], s[12:13], v[4:5] op_sel:[0,0,1] op_sel_hi:[1,0,0]
	v_pk_fma_f32 v[84:85], v[0:1], s[12:13], v[4:5] op_sel:[0,0,1] op_sel_hi:[1,0,0] neg_lo:[0,0,1] neg_hi:[0,0,1]
	v_pk_mul_f32 v[26:27], v[48:49], s[26:27] op_sel_hi:[1,0]
	v_mov_b32_e32 v4, v82
	v_mov_b32_e32 v5, v85
	v_pk_fma_f32 v[86:87], v[40:41], s[22:23], v[26:27] op_sel:[0,0,1] op_sel_hi:[1,0,0]
	v_pk_fma_f32 v[88:89], v[40:41], s[22:23], v[26:27] op_sel:[0,0,1] op_sel_hi:[1,0,0] neg_lo:[0,0,1] neg_hi:[0,0,1]
	v_pk_add_f32 v[4:5], v[6:7], v[4:5]
	v_mov_b32_e32 v26, v86
	v_mov_b32_e32 v27, v89
	s_mov_b32 s28, 0xbe750f2a
	v_pk_add_f32 v[4:5], v[26:27], v[4:5]
	v_pk_mul_f32 v[26:27], v[54:55], s[28:29] op_sel_hi:[1,0]
	s_mov_b32 s36, 0x3f29c268
	v_pk_fma_f32 v[92:93], v[42:43], s[18:19], v[26:27] op_sel:[0,0,1] op_sel_hi:[1,0,0]
	v_pk_fma_f32 v[94:95], v[42:43], s[18:19], v[26:27] op_sel:[0,0,1] op_sel_hi:[1,0,0] neg_lo:[0,0,1] neg_hi:[0,0,1]
	v_mov_b32_e32 v26, v92
	v_mov_b32_e32 v27, v95
	v_pk_add_f32 v[4:5], v[26:27], v[4:5]
	v_pk_mul_f32 v[26:27], v[56:57], s[36:37] op_sel_hi:[1,0]
	s_mov_b32 s40, 0xbeedf032
	v_pk_fma_f32 v[96:97], v[46:47], s[10:11], v[26:27] op_sel:[0,0,1] op_sel_hi:[1,0,0]
	v_pk_fma_f32 v[98:99], v[46:47], s[10:11], v[26:27] op_sel:[0,0,1] op_sel_hi:[1,0,0] neg_lo:[0,0,1] neg_hi:[0,0,1]
	v_mov_b32_e32 v26, v96
	v_mov_b32_e32 v27, v99
	;; [unrolled: 7-line block ×3, first 2 shown]
	v_pk_add_f32 v[4:5], v[26:27], v[4:5]
	v_pk_mul_f32 v[26:27], v[44:45], s[40:41] op_sel_hi:[1,0]
	v_pk_mul_f32 v[28:29], v[44:45], s[38:39] op_sel_hi:[1,0]
	v_pk_fma_f32 v[106:107], v[0:1], s[20:21], v[26:27] op_sel:[0,0,1] op_sel_hi:[1,0,0] neg_lo:[0,0,1] neg_hi:[0,0,1]
	v_pk_fma_f32 v[118:119], v[0:1], s[4:5], v[28:29] op_sel:[0,0,1] op_sel_hi:[1,0,0]
	v_pk_mul_f32 v[38:39], v[48:49], s[34:35] op_sel_hi:[1,0]
	v_pk_mul_f32 v[52:53], v[48:49], s[28:29] op_sel_hi:[1,0]
	v_mov_b32_e32 v36, v118
	v_mov_b32_e32 v37, v107
	v_pk_fma_f32 v[112:113], v[40:41], s[12:13], v[38:39] op_sel:[0,0,1] op_sel_hi:[1,0,0] neg_lo:[0,0,1] neg_hi:[0,0,1]
	v_pk_fma_f32 v[122:123], v[40:41], s[18:19], v[52:53] op_sel:[0,0,1] op_sel_hi:[1,0,0]
	v_pk_add_f32 v[36:37], v[6:7], v[36:37]
	v_mov_b32_e32 v90, v122
	v_mov_b32_e32 v91, v113
	s_mov_b32 s40, 0x3f6f5d39
	v_pk_add_f32 v[36:37], v[90:91], v[36:37]
	v_pk_mul_f32 v[90:91], v[54:55], s[38:39] op_sel_hi:[1,0]
	v_pk_mul_f32 v[104:105], v[54:55], s[40:41] op_sel_hi:[1,0]
	v_pk_fma_f32 v[116:117], v[42:43], s[4:5], v[90:91] op_sel:[0,0,1] op_sel_hi:[1,0,0] neg_lo:[0,0,1] neg_hi:[0,0,1]
	v_pk_fma_f32 v[130:131], v[42:43], s[22:23], v[104:105] op_sel:[0,0,1] op_sel_hi:[1,0,0]
	v_mov_b32_e32 v109, v117
	v_mov_b32_e32 v108, v130
	v_pk_mul_f32 v[124:125], v[46:47], s[22:23] op_sel_hi:[1,0]
	v_pk_mul_f32 v[140:141], v[46:47], s[20:21] op_sel_hi:[1,0]
	v_pk_add_f32 v[36:37], v[108:109], v[36:37]
	v_mov_b32_e32 v108, v125
	v_mov_b32_e32 v109, v140
	v_pk_mul_f32 v[160:161], v[56:57], s[26:27] op_sel_hi:[1,0]
	s_mov_b32 s27, s24
	v_pk_fma_f32 v[110:111], v[56:57], s[26:27], v[108:109] neg_lo:[1,0,0] neg_hi:[1,0,0]
	v_pk_fma_f32 v[108:109], v[56:57], s[26:27], v[108:109]
	v_pk_fma_f32 v[152:153], v[0:1], s[20:21], v[26:27] op_sel:[0,0,1] op_sel_hi:[1,0,0]
	v_mov_b32_e32 v111, v109
	v_pk_add_f32 v[36:37], v[110:111], v[36:37] op_sel:[0,1] op_sel_hi:[1,0]
	v_pk_fma_f32 v[110:111], v[0:1], s[4:5], v[28:29] op_sel:[0,0,1] op_sel_hi:[1,0,0] neg_lo:[0,0,1] neg_hi:[0,0,1]
	v_pk_fma_f32 v[154:155], v[40:41], s[12:13], v[38:39] op_sel:[0,0,1] op_sel_hi:[1,0,0]
	v_pk_fma_f32 v[108:109], v[40:41], s[18:19], v[52:53] op_sel:[0,0,1] op_sel_hi:[1,0,0] neg_lo:[0,0,1] neg_hi:[0,0,1]
	v_mov_b32_e32 v26, v152
	v_mov_b32_e32 v27, v111
	v_pk_add_f32 v[26:27], v[6:7], v[26:27]
	v_mov_b32_e32 v28, v154
	v_mov_b32_e32 v29, v109
	v_pk_fma_f32 v[166:167], v[42:43], s[4:5], v[90:91] op_sel:[0,0,1] op_sel_hi:[1,0,0]
	v_pk_fma_f32 v[114:115], v[42:43], s[22:23], v[104:105] op_sel:[0,0,1] op_sel_hi:[1,0,0] neg_lo:[0,0,1] neg_hi:[0,0,1]
	v_pk_add_f32 v[26:27], v[28:29], v[26:27]
	v_mov_b32_e32 v28, v166
	v_mov_b32_e32 v29, v115
	s_mov_b32 s23, s20
	v_pk_mul_f32 v[172:173], v[56:57], s[24:25] op_sel_hi:[1,0]
	v_pk_add_f32 v[26:27], v[28:29], v[26:27]
	v_pk_fma_f32 v[28:29], v[46:47], s[22:23], v[160:161] op_sel:[0,0,1] op_sel_hi:[1,1,0]
	v_pk_fma_f32 v[38:39], v[46:47], s[22:23], v[172:173] op_sel:[0,0,1] op_sel_hi:[1,1,0] neg_lo:[0,0,1] neg_hi:[0,0,1]
	v_pk_mul_f32 v[52:53], v[64:65], s[34:35] op_sel_hi:[1,0]
	v_mov_b32_e32 v29, v39
	v_pk_add_f32 v[38:39], v[28:29], v[26:27]
	v_pk_mul_f32 v[26:27], v[64:65], s[14:15] op_sel_hi:[1,0]
	v_pk_fma_f32 v[174:175], v[50:51], s[12:13], v[52:53] op_sel:[0,0,1] op_sel_hi:[1,0,0]
	v_pk_fma_f32 v[150:151], v[50:51], s[10:11], v[26:27] op_sel:[0,0,1] op_sel_hi:[1,0,0] neg_lo:[0,0,1] neg_hi:[0,0,1]
	v_mov_b32_e32 v29, v174
	v_mov_b32_e32 v28, v151
	v_pk_fma_f32 v[170:171], v[50:51], s[10:11], v[26:27] op_sel:[0,0,1] op_sel_hi:[1,0,0]
	v_add_u32_e32 v26, 0x1400, v186
	v_pk_add_f32 v[36:37], v[28:29], v[36:37]
	ds_read2_b64 v[26:29], v26 offset0:116 offset1:242
	v_pk_fma_f32 v[120:121], v[50:51], s[12:13], v[52:53] op_sel:[0,0,1] op_sel_hi:[1,0,0] neg_lo:[0,0,1] neg_hi:[0,0,1]
	v_mov_b32_e32 v52, v170
	v_mov_b32_e32 v53, v121
	v_pk_add_f32 v[188:189], v[52:53], v[38:39]
	s_waitcnt lgkmcnt(0)
	v_pk_add_f32 v[104:105], v[26:27], v[28:29] neg_lo:[0,1] neg_hi:[0,1]
	v_pk_add_f32 v[90:91], v[28:29], v[26:27]
	v_pk_mul_f32 v[176:177], v[104:105], s[28:29] op_sel_hi:[1,0]
	v_pk_mul_f32 v[190:191], v[104:105], s[14:15] op_sel_hi:[1,0]
	v_pk_fma_f32 v[168:169], v[90:91], s[18:19], v[176:177] op_sel:[0,0,1] op_sel_hi:[1,0,0] neg_lo:[0,0,1] neg_hi:[0,0,1]
	v_pk_fma_f32 v[178:179], v[90:91], s[10:11], v[190:191] op_sel:[0,0,1] op_sel_hi:[1,0,0]
	v_mov_b32_e32 v38, v169
	v_mov_b32_e32 v39, v178
	v_pk_add_f32 v[36:37], v[38:39], v[36:37]
	v_pk_mul_f32 v[38:39], v[44:45], s[26:27] op_sel_hi:[1,0]
	v_pk_mul_f32 v[52:53], v[48:49], s[36:37] op_sel_hi:[1,0]
	v_pk_fma_f32 v[126:127], v[0:1], s[22:23], v[38:39] op_sel:[0,0,1] op_sel_hi:[1,0,0]
	v_pk_fma_f32 v[128:129], v[0:1], s[22:23], v[38:39] op_sel:[0,0,1] op_sel_hi:[1,0,0] neg_lo:[0,0,1] neg_hi:[0,0,1]
	v_mov_b32_e32 v38, v126
	v_mov_b32_e32 v39, v129
	v_pk_fma_f32 v[132:133], v[40:41], s[10:11], v[52:53] op_sel:[0,0,1] op_sel_hi:[1,0,0]
	v_pk_fma_f32 v[138:139], v[40:41], s[10:11], v[52:53] op_sel:[0,0,1] op_sel_hi:[1,0,0] neg_lo:[0,0,1] neg_hi:[0,0,1]
	v_pk_add_f32 v[38:39], v[6:7], v[38:39]
	v_mov_b32_e32 v52, v132
	v_mov_b32_e32 v53, v139
	v_pk_add_f32 v[38:39], v[52:53], v[38:39]
	v_pk_mul_f32 v[52:53], v[54:55], s[24:25] op_sel_hi:[1,0]
	s_mov_b32 s34, 0x3f52af12
	v_pk_fma_f32 v[142:143], v[42:43], s[20:21], v[52:53] op_sel:[0,0,1] op_sel_hi:[1,0,0]
	v_pk_fma_f32 v[144:145], v[42:43], s[20:21], v[52:53] op_sel:[0,0,1] op_sel_hi:[1,0,0] neg_lo:[0,0,1] neg_hi:[0,0,1]
	v_mov_b32_e32 v52, v142
	v_mov_b32_e32 v53, v145
	v_pk_add_f32 v[38:39], v[52:53], v[38:39]
	v_pk_mul_f32 v[52:53], v[56:57], s[38:39] op_sel_hi:[1,0]
	v_pk_fma_f32 v[184:185], v[90:91], s[18:19], v[176:177] op_sel:[0,0,1] op_sel_hi:[1,0,0]
	v_pk_fma_f32 v[146:147], v[46:47], s[4:5], v[52:53] op_sel:[0,0,1] op_sel_hi:[1,0,0]
	v_pk_fma_f32 v[148:149], v[46:47], s[4:5], v[52:53] op_sel:[0,0,1] op_sel_hi:[1,0,0] neg_lo:[0,0,1] neg_hi:[0,0,1]
	v_mov_b32_e32 v52, v146
	v_mov_b32_e32 v53, v149
	v_pk_add_f32 v[38:39], v[52:53], v[38:39]
	v_pk_mul_f32 v[52:53], v[64:65], s[30:31] op_sel_hi:[1,0]
	v_pk_fma_f32 v[176:177], v[90:91], s[10:11], v[190:191] op_sel:[0,0,1] op_sel_hi:[1,0,0] neg_lo:[0,0,1] neg_hi:[0,0,1]
	v_pk_fma_f32 v[156:157], v[50:51], s[18:19], v[52:53] op_sel:[0,0,1] op_sel_hi:[1,0,0]
	v_pk_fma_f32 v[158:159], v[50:51], s[18:19], v[52:53] op_sel:[0,0,1] op_sel_hi:[1,0,0] neg_lo:[0,0,1] neg_hi:[0,0,1]
	v_mov_b32_e32 v52, v156
	v_mov_b32_e32 v53, v159
	v_pk_add_f32 v[38:39], v[52:53], v[38:39]
	v_pk_mul_f32 v[52:53], v[104:105], s[34:35] op_sel_hi:[1,0]
	s_movk_i32 s5, 0x7e
	v_pk_fma_f32 v[162:163], v[90:91], s[12:13], v[52:53] op_sel:[0,0,1] op_sel_hi:[1,0,0]
	v_pk_fma_f32 v[164:165], v[90:91], s[12:13], v[52:53] op_sel:[0,0,1] op_sel_hi:[1,0,0] neg_lo:[0,0,1] neg_hi:[0,0,1]
	v_mov_b32_e32 v52, v162
	v_mov_b32_e32 v53, v165
	v_pk_add_f32 v[52:53], v[52:53], v[38:39]
	v_pk_mul_f32 v[38:39], v[104:105], s[26:27] op_sel_hi:[1,0]
	v_cmp_gt_u32_e32 vcc, s5, v34
	v_pk_fma_f32 v[134:135], v[90:91], s[22:23], v[38:39] op_sel:[0,0,1] op_sel_hi:[1,0,0]
	v_pk_fma_f32 v[136:137], v[90:91], s[22:23], v[38:39] op_sel:[0,0,1] op_sel_hi:[1,0,0] neg_lo:[0,0,1] neg_hi:[0,0,1]
	v_mov_b32_e32 v38, v134
	v_mov_b32_e32 v39, v137
	v_pk_add_f32 v[38:39], v[38:39], v[2:3]
	v_pk_mul_f32 v[2:3], v[104:105], s[24:25] op_sel_hi:[1,0]
	s_nop 0
	v_pk_fma_f32 v[180:181], v[90:91], s[20:21], v[2:3] op_sel:[0,0,1] op_sel_hi:[1,0,0]
	v_pk_fma_f32 v[182:183], v[90:91], s[20:21], v[2:3] op_sel:[0,0,1] op_sel_hi:[1,0,0] neg_lo:[0,0,1] neg_hi:[0,0,1]
	v_mov_b32_e32 v2, v180
	v_mov_b32_e32 v3, v183
	v_pk_add_f32 v[2:3], v[2:3], v[4:5]
	v_mov_b32_e32 v4, v184
	v_mov_b32_e32 v5, v177
	v_pk_add_f32 v[4:5], v[4:5], v[188:189]
	s_barrier
	s_and_saveexec_b64 s[30:31], vcc
	s_cbranch_execz .LBB0_15
; %bb.14:
	v_pk_add_f32 v[8:9], v[6:7], v[8:9]
	v_mov_b32_e32 v107, v153
	v_pk_add_f32 v[8:9], v[8:9], v[22:23]
	v_mov_b32_e32 v22, v161
	;; [unrolled: 2-line block ×6, first 2 shown]
	v_pk_add_f32 v[118:119], v[140:141], v[24:25] neg_lo:[0,1] neg_hi:[0,1]
	v_pk_add_f32 v[24:25], v[140:141], v[24:25]
	v_mov_b32_e32 v113, v155
	v_pk_add_f32 v[8:9], v[8:9], v[28:29]
	v_pk_add_f32 v[10:11], v[6:7], v[106:107]
	v_mov_b32_e32 v119, v25
	v_mov_b32_e32 v117, v167
	v_pk_add_f32 v[24:25], v[124:125], v[22:23] neg_lo:[0,1] neg_hi:[0,1]
	v_pk_add_f32 v[22:23], v[124:125], v[22:23]
	v_pk_add_f32 v[8:9], v[8:9], v[14:15]
	;; [unrolled: 1-line block ×3, first 2 shown]
	v_mov_b32_e32 v25, v23
	v_pk_add_f32 v[8:9], v[8:9], v[16:17]
	v_pk_add_f32 v[10:11], v[116:117], v[10:11]
	v_mov_b32_e32 v151, v171
	v_pk_add_f32 v[8:9], v[8:9], v[18:19]
	v_pk_add_f32 v[10:11], v[24:25], v[10:11]
	v_mov_b32_e32 v169, v185
	s_movk_i32 s5, 0x60
	v_pk_add_f32 v[8:9], v[8:9], v[20:21]
	v_pk_add_f32 v[10:11], v[150:151], v[10:11]
	v_mad_u32_u24 v58, v34, s5, v186
	v_pk_add_f32 v[8:9], v[8:9], v[80:81]
	v_pk_add_f32 v[10:11], v[168:169], v[10:11]
	v_mov_b32_e32 v85, v83
	v_mov_b32_e32 v109, v123
	ds_write2_b64 v58, v[8:9], v[10:11] offset1:1
	v_pk_add_f32 v[8:9], v[6:7], v[84:85]
	v_mov_b32_e32 v89, v87
	v_pk_add_f32 v[10:11], v[6:7], v[110:111]
	v_mov_b32_e32 v115, v131
	;; [unrolled: 2-line block ×3, first 2 shown]
	v_pk_add_f32 v[10:11], v[108:109], v[10:11]
	v_pk_add_f32 v[8:9], v[94:95], v[8:9]
	v_mov_b32_e32 v99, v97
	v_pk_add_f32 v[10:11], v[114:115], v[10:11]
	v_mov_b32_e32 v121, v175
	;; [unrolled: 2-line block ×5, first 2 shown]
	v_pk_add_f32 v[10:11], v[120:121], v[10:11]
	v_pk_add_f32 v[8:9], v[182:183], v[8:9]
	;; [unrolled: 1-line block ×3, first 2 shown]
	v_mov_b32_e32 v129, v127
	v_mov_b32_e32 v61, v59
	ds_write2_b64 v58, v[8:9], v[10:11] offset0:2 offset1:3
	v_pk_add_f32 v[8:9], v[6:7], v[128:129]
	v_mov_b32_e32 v139, v133
	v_pk_add_f32 v[10:11], v[6:7], v[60:61]
	v_mov_b32_e32 v67, v63
	;; [unrolled: 2-line block ×10, first 2 shown]
	v_pk_add_f32 v[8:9], v[164:165], v[8:9]
	v_pk_add_f32 v[10:11], v[136:137], v[10:11]
	ds_write2_b64 v58, v[8:9], v[10:11] offset0:4 offset1:5
	v_pk_mul_f32 v[8:9], v[44:45], s[28:29] op_sel_hi:[1,0]
	v_pk_mul_f32 v[10:11], v[48:49], s[24:25] op_sel_hi:[1,0]
	v_pk_fma_f32 v[20:21], v[0:1], s[18:19], v[8:9] op_sel:[0,0,1] op_sel_hi:[1,0,0] neg_lo:[0,0,1] neg_hi:[0,0,1]
	v_pk_fma_f32 v[0:1], v[0:1], s[18:19], v[8:9] op_sel:[0,0,1] op_sel_hi:[1,0,0]
	v_mov_b32_e32 v8, v20
	v_mov_b32_e32 v9, v1
	v_pk_fma_f32 v[22:23], v[40:41], s[20:21], v[10:11] op_sel:[0,0,1] op_sel_hi:[1,0,0] neg_lo:[0,0,1] neg_hi:[0,0,1]
	v_pk_fma_f32 v[10:11], v[40:41], s[20:21], v[10:11] op_sel:[0,0,1] op_sel_hi:[1,0,0]
	v_pk_mul_f32 v[12:13], v[54:55], s[14:15] op_sel_hi:[1,0]
	v_pk_add_f32 v[8:9], v[6:7], v[8:9]
	v_mov_b32_e32 v24, v22
	v_mov_b32_e32 v25, v11
	v_pk_add_f32 v[8:9], v[24:25], v[8:9]
	v_pk_fma_f32 v[24:25], v[42:43], s[10:11], v[12:13] op_sel:[0,0,1] op_sel_hi:[1,0,0] neg_lo:[0,0,1] neg_hi:[0,0,1]
	v_pk_fma_f32 v[12:13], v[42:43], s[10:11], v[12:13] op_sel:[0,0,1] op_sel_hi:[1,0,0]
	v_pk_mul_f32 v[14:15], v[56:57], s[34:35] op_sel_hi:[1,0]
	v_mov_b32_e32 v26, v24
	v_mov_b32_e32 v27, v13
	v_pk_add_f32 v[8:9], v[26:27], v[8:9]
	v_pk_fma_f32 v[26:27], v[46:47], s[12:13], v[14:15] op_sel:[0,0,1] op_sel_hi:[1,0,0] neg_lo:[0,0,1] neg_hi:[0,0,1]
	v_pk_fma_f32 v[14:15], v[46:47], s[12:13], v[14:15] op_sel:[0,0,1] op_sel_hi:[1,0,0]
	v_mov_b32_e32 v1, v21
	v_pk_mul_f32 v[16:17], v[64:65], s[26:27] op_sel_hi:[1,0]
	v_mov_b32_e32 v28, v26
	v_mov_b32_e32 v29, v15
	v_pk_add_f32 v[0:1], v[6:7], v[0:1]
	v_mov_b32_e32 v11, v23
	v_pk_add_f32 v[8:9], v[28:29], v[8:9]
	v_pk_fma_f32 v[28:29], v[50:51], s[22:23], v[16:17] op_sel:[0,0,1] op_sel_hi:[1,0,0] neg_lo:[0,0,1] neg_hi:[0,0,1]
	v_pk_fma_f32 v[16:17], v[50:51], s[22:23], v[16:17] op_sel:[0,0,1] op_sel_hi:[1,0,0]
	v_pk_add_f32 v[0:1], v[10:11], v[0:1]
	v_mov_b32_e32 v13, v25
	v_pk_mul_f32 v[18:19], v[104:105], s[16:17] op_sel_hi:[1,0]
	v_mov_b32_e32 v40, v28
	v_mov_b32_e32 v41, v17
	v_pk_add_f32 v[0:1], v[12:13], v[0:1]
	v_mov_b32_e32 v15, v27
	v_pk_add_f32 v[8:9], v[40:41], v[8:9]
	v_pk_fma_f32 v[40:41], v[90:91], s[4:5], v[18:19] op_sel:[0,0,1] op_sel_hi:[1,0,0] neg_lo:[0,0,1] neg_hi:[0,0,1]
	v_pk_fma_f32 v[18:19], v[90:91], s[4:5], v[18:19] op_sel:[0,0,1] op_sel_hi:[1,0,0]
	v_pk_add_f32 v[0:1], v[14:15], v[0:1]
	v_mov_b32_e32 v17, v29
	v_mov_b32_e32 v42, v40
	;; [unrolled: 1-line block ×3, first 2 shown]
	v_pk_add_f32 v[0:1], v[16:17], v[0:1]
	v_mov_b32_e32 v19, v41
	v_pk_add_f32 v[8:9], v[42:43], v[8:9]
	v_pk_add_f32 v[0:1], v[18:19], v[0:1]
	ds_write2_b64 v58, v[8:9], v[0:1] offset0:6 offset1:7
	ds_write2_b64 v58, v[38:39], v[52:53] offset0:8 offset1:9
	v_mov_b32_e32 v0, v37
	v_mov_b32_e32 v1, v5
	ds_write2_b64 v58, v[0:1], v[2:3] offset0:10 offset1:11
	v_mov_b32_e32 v0, v4
	v_mov_b32_e32 v1, v36
	ds_write_b64 v58, v[0:1] offset:96
.LBB0_15:
	s_or_b64 exec, exec, s[30:31]
	v_add_u32_e32 v26, 0x16c, v34
	v_add_u32_e32 v0, 0x1800, v186
	;; [unrolled: 1-line block ×3, first 2 shown]
	v_lshl_add_u32 v51, v26, 3, 0
	s_waitcnt lgkmcnt(0)
	s_barrier
	ds_read2_b64 v[6:9], v186 offset1:182
	ds_read2_b64 v[10:13], v0 offset0:51 offset1:233
	ds_read2_b64 v[14:17], v35 offset0:31 offset1:213
	v_lshl_add_u32 v50, v24, 3, 0
	ds_read_b64 v[0:1], v51
	ds_read_b64 v[18:19], v50
	s_movk_i32 s4, 0x5b
	v_cmp_gt_u32_e32 vcc, s4, v34
	s_and_saveexec_b64 s[4:5], vcc
	s_cbranch_execz .LBB0_17
; %bb.16:
	ds_read_b64 v[38:39], v186 offset:5824
	ds_read_b64 v[52:53], v186 offset:12376
.LBB0_17:
	s_or_b64 exec, exec, s[4:5]
	s_movk_i32 s4, 0x4f
	v_mul_lo_u16_sdwa v21, v34, s4 dst_sel:DWORD dst_unused:UNUSED_PAD src0_sel:BYTE_0 src1_sel:DWORD
	v_lshrrev_b16_e32 v49, 10, v21
	v_add_u32_e32 v25, 0xb6, v34
	v_mul_lo_u16_e32 v22, 13, v49
	s_movk_i32 s4, 0x4ec5
	v_sub_u16_e32 v40, v34, v22
	v_mul_u32_u24_sdwa v22, v25, s4 dst_sel:DWORD dst_unused:UNUSED_PAD src0_sel:WORD_0 src1_sel:DWORD
	v_lshrrev_b32_e32 v54, 18, v22
	v_mul_lo_u16_e32 v23, 13, v54
	v_sub_u16_e32 v41, v25, v23
	v_mul_u32_u24_sdwa v23, v26, s4 dst_sel:DWORD dst_unused:UNUSED_PAD src0_sel:WORD_0 src1_sel:DWORD
	v_lshrrev_b32_e32 v55, 18, v23
	v_mul_lo_u16_e32 v27, 13, v55
	v_sub_u16_e32 v42, v26, v27
	v_mul_u32_u24_sdwa v27, v24, s4 dst_sel:DWORD dst_unused:UNUSED_PAD src0_sel:WORD_0 src1_sel:DWORD
	v_lshrrev_b32_e32 v56, 18, v27
	v_add_u32_e32 v20, 0x2d8, v34
	v_mul_lo_u16_e32 v27, 13, v56
	v_sub_u16_e32 v43, v24, v27
	v_mul_u32_u24_sdwa v27, v20, s4 dst_sel:DWORD dst_unused:UNUSED_PAD src0_sel:WORD_0 src1_sel:DWORD
	v_lshrrev_b32_e32 v27, 18, v27
	v_mul_lo_u16_e32 v28, 13, v27
	v_sub_u16_e32 v20, v20, v28
	v_lshlrev_b32_e32 v35, 3, v20
	v_mov_b32_e32 v20, 3
	v_lshlrev_b32_e32 v60, 3, v43
	global_load_dwordx2 v[28:29], v35, s[8:9]
	v_lshlrev_b32_sdwa v57, v20, v40 dst_sel:DWORD dst_unused:UNUSED_PAD src0_sel:DWORD src1_sel:BYTE_0
	v_lshlrev_b32_e32 v58, 3, v41
	v_lshlrev_b32_e32 v59, 3, v42
	global_load_dwordx2 v[40:41], v60, s[8:9]
	global_load_dwordx2 v[42:43], v59, s[8:9]
	global_load_dwordx2 v[44:45], v58, s[8:9]
	global_load_dwordx2 v[46:47], v57, s[8:9]
	s_load_dwordx2 s[10:11], s[2:3], 0x0
	s_mov_b32 s3, 0x5040100
	s_movk_i32 s2, 0xd0
	v_perm_b32 v55, v56, v55, s3
	v_pk_mul_lo_u16 v55, v55, s2 op_sel_hi:[1,0]
	s_waitcnt lgkmcnt(0)
	v_mov_b32_e32 v48, v53
	v_mul_u32_u24_e32 v49, 0xd0, v49
	v_mul_u32_u24_e32 v54, 0xd0, v54
	v_and_b32_e32 v56, 0xfff0, v55
	v_lshrrev_b32_e32 v55, 16, v55
	v_add3_u32 v64, 0, v49, v57
	v_add3_u32 v65, 0, v54, v58
	;; [unrolled: 1-line block ×4, first 2 shown]
	s_barrier
	s_waitcnt vmcnt(4)
	v_pk_mul_f32 v[48:49], v[48:49], v[28:29] op_sel_hi:[0,1]
	s_waitcnt vmcnt(3)
	v_pk_mul_f32 v[54:55], v[40:41], v[16:17] op_sel:[0,1]
	s_waitcnt vmcnt(2)
	v_pk_mul_f32 v[56:57], v[42:43], v[14:15] op_sel:[0,1]
	;; [unrolled: 2-line block ×4, first 2 shown]
	v_pk_fma_f32 v[62:63], v[52:53], v[28:29], v[48:49] op_sel:[0,0,1] op_sel_hi:[1,1,0] neg_lo:[0,0,1] neg_hi:[0,0,1]
	v_pk_fma_f32 v[28:29], v[52:53], v[28:29], v[48:49] op_sel:[0,0,1] op_sel_hi:[0,1,0]
	v_pk_fma_f32 v[48:49], v[40:41], v[16:17], v[54:55] op_sel:[0,0,1] op_sel_hi:[1,1,0] neg_lo:[0,0,1] neg_hi:[0,0,1]
	v_pk_fma_f32 v[16:17], v[40:41], v[16:17], v[54:55] op_sel:[0,0,1] op_sel_hi:[1,0,0]
	;; [unrolled: 2-line block ×5, first 2 shown]
	v_mov_b32_e32 v63, v29
	v_mov_b32_e32 v45, v11
	;; [unrolled: 1-line block ×5, first 2 shown]
	v_pk_add_f32 v[16:17], v[6:7], v[44:45] neg_lo:[0,1] neg_hi:[0,1]
	v_pk_add_f32 v[28:29], v[38:39], v[62:63] neg_lo:[0,1] neg_hi:[0,1]
	;; [unrolled: 1-line block ×5, first 2 shown]
	v_pk_fma_f32 v[6:7], v[6:7], 2.0, v[16:17] op_sel_hi:[1,0,1] neg_lo:[0,0,1] neg_hi:[0,0,1]
	v_pk_fma_f32 v[18:19], v[18:19], 2.0, v[10:11] op_sel_hi:[1,0,1] neg_lo:[0,0,1] neg_hi:[0,0,1]
	v_pk_fma_f32 v[0:1], v[0:1], 2.0, v[12:13] op_sel_hi:[1,0,1] neg_lo:[0,0,1] neg_hi:[0,0,1]
	v_pk_fma_f32 v[8:9], v[8:9], 2.0, v[14:15] op_sel_hi:[1,0,1] neg_lo:[0,0,1] neg_hi:[0,0,1]
	ds_write2_b64 v64, v[6:7], v[16:17] offset1:13
	ds_write2_b64 v65, v[8:9], v[14:15] offset1:13
	;; [unrolled: 1-line block ×4, first 2 shown]
	s_and_saveexec_b64 s[2:3], vcc
	s_cbranch_execz .LBB0_19
; %bb.18:
	v_mul_lo_u16_e32 v0, 26, v27
	v_lshlrev_b32_e32 v0, 3, v0
	v_add3_u32 v6, 0, v35, v0
	v_pk_fma_f32 v[0:1], v[38:39], 2.0, v[28:29] op_sel_hi:[1,0,1] neg_lo:[0,0,1] neg_hi:[0,0,1]
	ds_write2_b64 v6, v[0:1], v[28:29] offset1:13
.LBB0_19:
	s_or_b64 exec, exec, s[2:3]
	v_lshrrev_b32_e32 v35, 19, v22
	v_lshrrev_b16_e32 v21, 11, v21
	v_mul_lo_u16_e32 v1, 26, v35
	v_lshrrev_b32_e32 v53, 19, v23
	v_mul_lo_u16_e32 v0, 26, v21
	v_sub_u16_e32 v52, v25, v1
	v_mul_lo_u16_e32 v1, 26, v53
	v_sub_u16_e32 v27, v34, v0
	v_mov_b32_e32 v0, 4
	v_sub_u16_e32 v64, v26, v1
	v_lshlrev_b32_e32 v1, 4, v64
	v_lshlrev_b32_sdwa v0, v0, v27 dst_sel:DWORD dst_unused:UNUSED_PAD src0_sel:DWORD src1_sel:BYTE_0
	s_waitcnt lgkmcnt(0)
	s_barrier
	global_load_dwordx4 v[6:9], v1, s[8:9] offset:104
	global_load_dwordx4 v[14:17], v0, s[8:9] offset:104
	v_lshlrev_b32_e32 v1, 4, v52
	global_load_dwordx4 v[10:13], v1, s[8:9] offset:104
	v_add_u32_e32 v42, 0x2000, v186
	v_add_u32_e32 v46, 0x1600, v186
	ds_read_b64 v[0:1], v50
	ds_read_b64 v[18:19], v51
	ds_read_b64 v[22:23], v186 offset:11648
	ds_read2_b64 v[38:41], v186 offset1:182
	ds_read2_b64 v[42:45], v42 offset0:68 offset1:250
	ds_read2_b64 v[46:49], v46 offset0:24 offset1:206
	v_mul_u32_u24_e32 v21, 0x270, v21
	v_lshlrev_b32_sdwa v20, v20, v27 dst_sel:DWORD dst_unused:UNUSED_PAD src0_sel:DWORD src1_sel:BYTE_0
	v_lshlrev_b32_e32 v27, 3, v52
	v_add3_u32 v65, 0, v21, v20
	s_mov_b32 s2, 0x3f5db3d7
	v_mul_u32_u24_e32 v35, 0x270, v35
	v_add3_u32 v27, 0, v35, v27
	s_waitcnt lgkmcnt(0)
	s_barrier
	v_cmp_lt_u32_e64 s[4:5], 51, v34
	s_waitcnt vmcnt(2)
	v_pk_mul_f32 v[20:21], v[6:7], v[48:49] op_sel:[0,1]
	v_mov_b32_e32 v52, v9
	s_waitcnt vmcnt(1)
	v_pk_mul_f32 v[58:59], v[14:15], v[0:1] op_sel:[0,1]
	s_waitcnt vmcnt(0)
	v_pk_mul_f32 v[54:55], v[10:11], v[46:47] op_sel:[0,1]
	v_pk_mul_f32 v[56:57], v[12:13], v[44:45] op_sel:[0,1]
	;; [unrolled: 1-line block ×3, first 2 shown]
	v_pk_fma_f32 v[62:63], v[6:7], v[48:49], v[20:21] op_sel:[0,0,1] op_sel_hi:[1,1,0] neg_lo:[0,0,1] neg_hi:[0,0,1]
	v_pk_fma_f32 v[6:7], v[6:7], v[48:49], v[20:21] op_sel:[0,0,1] op_sel_hi:[1,0,0]
	v_pk_mul_f32 v[20:21], v[22:23], v[52:53] op_sel_hi:[1,0]
	v_pk_fma_f32 v[48:49], v[10:11], v[46:47], v[54:55] op_sel:[0,0,1] op_sel_hi:[1,1,0] neg_lo:[0,0,1] neg_hi:[0,0,1]
	v_pk_fma_f32 v[10:11], v[10:11], v[46:47], v[54:55] op_sel:[0,0,1] op_sel_hi:[1,0,0]
	v_pk_fma_f32 v[46:47], v[12:13], v[44:45], v[56:57] op_sel:[0,0,1] op_sel_hi:[1,1,0] neg_lo:[0,0,1] neg_hi:[0,0,1]
	v_pk_fma_f32 v[12:13], v[12:13], v[44:45], v[56:57] op_sel:[0,0,1] op_sel_hi:[1,0,0]
	;; [unrolled: 2-line block ×4, first 2 shown]
	v_mov_b32_e32 v63, v7
	v_pk_fma_f32 v[6:7], v[22:23], v[8:9], v[20:21] op_sel:[0,0,1] op_sel_hi:[1,1,0] neg_lo:[0,0,1] neg_hi:[0,0,1]
	v_pk_fma_f32 v[8:9], v[22:23], v[8:9], v[20:21] op_sel:[0,0,1] op_sel_hi:[1,0,0]
	v_mov_b32_e32 v49, v11
	v_mov_b32_e32 v47, v13
	;; [unrolled: 1-line block ×5, first 2 shown]
	v_pk_add_f32 v[8:9], v[38:39], v[44:45]
	v_pk_add_f32 v[10:11], v[44:45], v[14:15]
	v_pk_add_f32 v[12:13], v[44:45], v[14:15] neg_lo:[0,1] neg_hi:[0,1]
	v_pk_add_f32 v[16:17], v[48:49], v[46:47]
	v_pk_add_f32 v[20:21], v[48:49], v[46:47] neg_lo:[0,1] neg_hi:[0,1]
	;; [unrolled: 2-line block ×3, first 2 shown]
	v_pk_add_f32 v[14:15], v[8:9], v[14:15]
	v_pk_fma_f32 v[8:9], v[10:11], 0.5, v[38:39] op_sel_hi:[1,0,1] neg_lo:[1,0,0] neg_hi:[1,0,0]
	v_pk_mul_f32 v[10:11], v[12:13], s[2:3] op_sel_hi:[1,0]
	v_pk_fma_f32 v[12:13], v[16:17], 0.5, v[40:41] op_sel_hi:[1,0,1] neg_lo:[1,0,0] neg_hi:[1,0,0]
	v_pk_mul_f32 v[16:17], v[20:21], s[2:3] op_sel_hi:[1,0]
	v_pk_add_f32 v[0:1], v[40:41], v[48:49]
	v_pk_fma_f32 v[20:21], v[22:23], 0.5, v[18:19] op_sel_hi:[1,0,1] neg_lo:[1,0,0] neg_hi:[1,0,0]
	v_pk_mul_f32 v[22:23], v[42:43], s[2:3] op_sel_hi:[1,0]
	v_pk_add_f32 v[40:41], v[8:9], v[10:11] op_sel:[0,1] op_sel_hi:[1,0]
	v_pk_add_f32 v[42:43], v[8:9], v[10:11] op_sel:[0,1] op_sel_hi:[1,0] neg_lo:[0,1] neg_hi:[0,1]
	v_pk_add_f32 v[44:45], v[12:13], v[16:17] op_sel:[0,1] op_sel_hi:[1,0]
	v_pk_add_f32 v[12:13], v[12:13], v[16:17] op_sel:[0,1] op_sel_hi:[1,0] neg_lo:[0,1] neg_hi:[0,1]
	v_pk_add_f32 v[0:1], v[0:1], v[46:47]
	v_pk_add_f32 v[10:11], v[20:21], v[22:23] op_sel:[0,1] op_sel_hi:[1,0]
	v_pk_add_f32 v[38:39], v[20:21], v[22:23] op_sel:[0,1] op_sel_hi:[1,0] neg_lo:[0,1] neg_hi:[0,1]
	v_mov_b32_e32 v16, v40
	v_mov_b32_e32 v17, v43
	v_mov_b32_e32 v20, v44
	v_mov_b32_e32 v21, v13
	v_mov_b32_e32 v43, v41
	ds_write2_b64 v65, v[14:15], v[16:17] offset1:26
	ds_write_b64 v65, v[42:43] offset:416
	ds_write2_b64 v27, v[0:1], v[20:21] offset1:26
	v_mul_u32_u24_e32 v0, 0x270, v53
	v_lshlrev_b32_e32 v1, 3, v64
	v_mov_b32_e32 v8, v10
	v_add3_u32 v10, 0, v0, v1
	v_pk_add_f32 v[0:1], v[18:19], v[62:63]
	v_mov_b32_e32 v9, v39
	v_mov_b32_e32 v13, v45
	v_pk_add_f32 v[0:1], v[0:1], v[6:7]
	ds_write_b64 v27, v[12:13] offset:416
	ds_write2_b64 v10, v[0:1], v[8:9] offset1:26
	v_mov_b32_e32 v39, v11
	v_add_u32_e32 v0, 0xe00, v186
	ds_write_b64 v10, v[38:39] offset:416
	s_waitcnt lgkmcnt(0)
	s_barrier
	ds_read2_b64 v[16:19], v0 offset0:20 offset1:254
	v_add_u32_e32 v0, 0x1d00, v186
	ds_read2_b64 v[12:15], v186 offset1:234
	ds_read2_b64 v[20:23], v0 offset0:8 offset1:242
	ds_read_b64 v[48:49], v186 offset:11232
	v_cmp_gt_u32_e64 s[2:3], 52, v34
                                        ; implicit-def: $vgpr42_vgpr43
                                        ; implicit-def: $vgpr46_vgpr47
                                        ; implicit-def: $vgpr44_vgpr45
                                        ; implicit-def: $vgpr40_vgpr41
	s_and_saveexec_b64 s[12:13], s[4:5]
	s_xor_b64 s[4:5], exec, s[12:13]
; %bb.20:
	v_mov_b32_e32 v40, v29
	v_mov_b32_e32 v41, v2
	v_mov_b32_e32 v42, v28
	v_mov_b32_e32 v43, v3
	v_mov_b64_e32 v[46:47], v[4:5]
	v_mov_b64_e32 v[44:45], v[36:37]
; %bb.21:
	s_andn2_saveexec_b64 s[4:5], s[4:5]
	s_cbranch_execz .LBB0_23
; %bb.22:
	v_add_u32_e32 v0, 0x1400, v186
	v_add_u32_e32 v4, 0x580, v186
	ds_read2_b32 v[28:29], v0 offset0:20 offset1:21
	v_add_u32_e32 v0, 0x1b00, v186
	ds_read2_b64 v[0:3], v0 offset0:20 offset1:254
	ds_read2_b64 v[8:11], v4 offset0:6 offset1:240
	v_add_u32_e32 v4, 0x2a00, v186
	ds_read2_b64 v[4:7], v4 offset0:8 offset1:242
	s_waitcnt lgkmcnt(3)
	v_mov_b32_e32 v40, v29
	s_waitcnt lgkmcnt(2)
	v_mov_b32_e32 v41, v2
	v_mov_b32_e32 v42, v28
	;; [unrolled: 1-line block ×3, first 2 shown]
	s_waitcnt lgkmcnt(0)
	v_mov_b32_e32 v44, v5
	v_mov_b32_e32 v45, v0
	;; [unrolled: 1-line block ×8, first 2 shown]
.LBB0_23:
	s_or_b64 exec, exec, s[4:5]
	v_lshrrev_b16_e32 v0, 1, v34
	v_and_b32_e32 v0, 0x7f, v0
	v_mul_lo_u16_e32 v0, 0xd3, v0
	v_lshrrev_b16_e32 v3, 13, v0
	v_mul_lo_u16_e32 v0, 0x4e, v3
	v_sub_u16_e32 v27, v34, v0
	v_mov_b32_e32 v0, 6
	v_mul_u32_u24_sdwa v0, v27, v0 dst_sel:DWORD dst_unused:UNUSED_PAD src0_sel:BYTE_0 src1_sel:DWORD
	v_lshlrev_b32_e32 v0, 3, v0
	global_load_dwordx4 v[52:55], v0, s[8:9] offset:520
	global_load_dwordx4 v[56:59], v0, s[8:9] offset:536
	;; [unrolled: 1-line block ×3, first 2 shown]
	v_mov_b32_e32 v35, 3
	v_mul_u32_u24_e32 v3, 0x1110, v3
	v_lshlrev_b32_sdwa v27, v35, v27 dst_sel:DWORD dst_unused:UNUSED_PAD src0_sel:DWORD src1_sel:BYTE_0
	s_waitcnt lgkmcnt(3)
	v_mov_b32_e32 v0, v17
	v_mov_b32_e32 v64, v16
	s_waitcnt lgkmcnt(1)
	v_mov_b32_e32 v65, v21
	v_mov_b32_e32 v66, v22
	;; [unrolled: 1-line block ×5, first 2 shown]
	v_add3_u32 v3, 0, v3, v27
	v_mov_b32_e32 v1, v20
	v_mov_b32_e32 v68, v23
	s_waitcnt lgkmcnt(0)
	v_mov_b32_e32 v28, v49
	s_mov_b32 s12, 0x3eae86e6
	s_mov_b32 s13, 0xbf08b237
	;; [unrolled: 1-line block ×10, first 2 shown]
	s_barrier
	s_mov_b32 s16, 0x3f5ff5aa
	s_mov_b32 s20, 0x3f3bfb3b
	s_waitcnt vmcnt(2)
	v_mul_f32_e32 v27, v55, v17
	s_waitcnt vmcnt(1)
	v_mul_f32_e32 v17, v56, v19
	v_mul_f32_e32 v19, v57, v18
	;; [unrolled: 1-line block ×3, first 2 shown]
	s_waitcnt vmcnt(0)
	v_mul_f32_e32 v18, v61, v23
	v_pk_mul_f32 v[72:73], v[52:53], v[14:15] op_sel_hi:[1,0]
	v_mov_b32_e32 v75, v58
	v_mov_b32_e32 v58, v55
	;; [unrolled: 1-line block ×6, first 2 shown]
	v_pk_mul_f32 v[78:79], v[62:63], v[48:49] op_sel_hi:[1,0]
	v_fma_f32 v18, v60, v22, -v18
	v_pk_fma_f32 v[22:23], v[52:53], v[10:11], v[72:73] op_sel:[0,0,1] op_sel_hi:[1,1,0]
	v_pk_fma_f32 v[14:15], v[52:53], v[14:15], v[72:73] op_sel:[0,1,1] op_sel_hi:[1,1,0] neg_lo:[1,0,0] neg_hi:[1,0,0]
	v_pk_mul_f32 v[52:53], v[58:59], v[64:65]
	v_pk_mul_f32 v[56:57], v[56:57], v[66:67]
	v_mul_f32_e32 v71, v59, v20
	v_fma_f32 v16, v54, v16, -v27
	v_pk_fma_f32 v[58:59], v[62:63], v[28:29], v[78:79] op_sel:[0,0,1] op_sel_hi:[1,1,0]
	v_pk_fma_f32 v[48:49], v[62:63], v[48:49], v[78:79] op_sel:[0,1,1] op_sel_hi:[1,1,0] neg_lo:[1,0,0] neg_hi:[1,0,0]
	v_pk_fma_f32 v[54:55], v[54:55], v[0:1], v[52:53]
	v_pk_fma_f32 v[0:1], v[74:75], v[0:1], v[52:53] neg_lo:[0,0,1] neg_hi:[0,0,1]
	v_pk_fma_f32 v[52:53], v[60:61], v[68:69], v[56:57]
	v_pk_fma_f32 v[56:57], v[76:77], v[68:69], v[56:57] neg_lo:[0,0,1] neg_hi:[0,0,1]
	v_mov_b32_e32 v23, v15
	v_mov_b32_e32 v59, v49
	;; [unrolled: 1-line block ×6, first 2 shown]
	v_pk_add_f32 v[62:63], v[16:17], v[18:19]
	v_mov_b32_e32 v17, v18
	v_pk_add_f32 v[18:19], v[22:23], v[58:59]
	v_pk_add_f32 v[20:21], v[20:21], v[70:71]
	v_mov_b32_e32 v0, v57
	v_pk_add_f32 v[56:57], v[54:55], v[52:53]
	v_mov_b32_e32 v15, v16
	v_mov_b32_e32 v16, v63
	v_mov_b32_e32 v48, v1
	v_mov_b32_e32 v14, v21
	v_mov_b32_e32 v49, v18
	v_mov_b32_e32 v1, v56
	v_pk_add_f32 v[22:23], v[22:23], v[58:59] neg_lo:[0,1] neg_hi:[0,1]
	v_pk_add_f32 v[60:61], v[62:63], v[20:21]
	v_pk_add_f32 v[14:15], v[14:15], v[16:17] neg_lo:[0,1] neg_hi:[0,1]
	v_pk_add_f32 v[0:1], v[0:1], v[48:49]
	v_pk_add_f32 v[52:53], v[54:55], v[52:53] neg_lo:[0,1] neg_hi:[0,1]
	v_mov_b32_e32 v59, v23
	v_mov_b32_e32 v65, v18
	;; [unrolled: 1-line block ×7, first 2 shown]
	v_pk_add_f32 v[58:59], v[58:59], v[52:53] neg_lo:[0,1] neg_hi:[0,1]
	v_pk_add_f32 v[64:65], v[64:65], v[62:63] neg_lo:[0,1] neg_hi:[0,1]
	v_mov_b32_e32 v21, v61
	v_mov_b32_e32 v66, v0
	;; [unrolled: 1-line block ×3, first 2 shown]
	v_pk_add_f32 v[0:1], v[60:61], v[0:1]
	v_pk_add_f32 v[16:17], v[54:55], v[14:15] neg_lo:[0,1] neg_hi:[0,1]
	v_pk_add_f32 v[54:55], v[52:53], v[14:15]
	v_pk_mul_f32 v[58:59], v[58:59], s[14:15]
	v_pk_add_f32 v[66:67], v[20:21], v[66:67] neg_lo:[0,1] neg_hi:[0,1]
	v_pk_add_f32 v[12:13], v[0:1], v[12:13]
	v_pk_mul_f32 v[60:61], v[64:65], s[18:19]
	v_pk_mul_f32 v[48:49], v[16:17], s[12:13]
	v_pk_add_f32 v[54:55], v[54:55], v[22:23]
	v_pk_mul_f32 v[64:65], v[66:67], s[24:25]
	v_pk_fma_f32 v[0:1], v[0:1], s[22:23], v[12:13] op_sel_hi:[1,0,1]
	v_pk_fma_f32 v[66:67], v[66:67], s[24:25], v[60:61]
	v_pk_fma_f32 v[16:17], v[16:17], s[12:13], v[58:59]
	v_pk_add_f32 v[66:67], v[66:67], v[0:1]
	v_pk_fma_f32 v[16:17], v[54:55], s[4:5], v[16:17] op_sel_hi:[1,0,1]
	v_mov_b32_e32 v53, v15
	v_pk_add_f32 v[68:69], v[66:67], v[16:17]
	v_pk_add_f32 v[16:17], v[66:67], v[16:17] neg_lo:[0,1] neg_hi:[0,1]
	v_mov_b32_e32 v66, v68
	v_mov_b32_e32 v67, v17
	;; [unrolled: 1-line block ×4, first 2 shown]
	ds_write2_b64 v3, v[12:13], v[66:67] offset1:78
	v_pk_add_f32 v[12:13], v[52:53], v[22:23] neg_lo:[0,1] neg_hi:[0,1]
	v_pk_add_f32 v[14:15], v[62:63], v[20:21] neg_lo:[0,1] neg_hi:[0,1]
	v_mov_b32_e32 v18, v64
	v_mov_b32_e32 v19, v61
	;; [unrolled: 1-line block ×6, first 2 shown]
	v_pk_fma_f32 v[18:19], v[14:15], s[20:21], v[18:19] op_sel_hi:[1,0,1] neg_lo:[1,0,1] neg_hi:[1,0,1]
	v_pk_fma_f32 v[20:21], v[12:13], s[16:17], v[20:21] op_sel_hi:[1,0,1] neg_lo:[1,0,1] neg_hi:[1,0,1]
	;; [unrolled: 1-line block ×4, first 2 shown]
	v_pk_add_f32 v[18:19], v[18:19], v[0:1]
	v_pk_fma_f32 v[20:21], v[54:55], s[4:5], v[20:21] op_sel_hi:[1,0,1]
	v_pk_add_f32 v[0:1], v[14:15], v[0:1]
	v_pk_fma_f32 v[12:13], v[54:55], s[4:5], v[12:13] op_sel_hi:[1,0,1]
	v_pk_add_f32 v[22:23], v[18:19], v[20:21]
	v_pk_add_f32 v[18:19], v[18:19], v[20:21] neg_lo:[0,1] neg_hi:[0,1]
	v_pk_add_f32 v[14:15], v[0:1], v[12:13] neg_lo:[0,1] neg_hi:[0,1]
	v_pk_add_f32 v[0:1], v[0:1], v[12:13]
	v_mov_b32_e32 v20, v22
	v_mov_b32_e32 v21, v19
	;; [unrolled: 1-line block ×6, first 2 shown]
	v_add_u32_e32 v10, 0x800, v3
	v_mov_b32_e32 v17, v69
	ds_write2_b64 v3, v[20:21], v[12:13] offset0:156 offset1:234
	ds_write2_b64 v10, v[0:1], v[18:19] offset0:56 offset1:134
	ds_write_b64 v3, v[16:17] offset:3744
	s_and_saveexec_b64 s[26:27], s[2:3]
	s_cbranch_execz .LBB0_25
; %bb.24:
	v_lshrrev_b16_e32 v0, 1, v25
	v_mul_u32_u24_e32 v0, 0x6907, v0
	v_lshrrev_b32_e32 v0, 20, v0
	v_mul_lo_u16_e32 v0, 0x4e, v0
	v_sub_u16_e32 v1, v25, v0
	v_mul_u32_u24_e32 v0, 6, v1
	v_lshlrev_b32_e32 v0, 3, v0
	global_load_dwordx4 v[12:15], v0, s[8:9] offset:520
	global_load_dwordx4 v[16:19], v0, s[8:9] offset:552
	;; [unrolled: 1-line block ×3, first 2 shown]
	v_mov_b32_e32 v0, v11
	v_mov_b32_e32 v10, v7
	;; [unrolled: 1-line block ×3, first 2 shown]
	v_lshl_add_u32 v27, v1, 3, 0
	v_add_u32_e32 v35, 0x2000, v27
	s_waitcnt vmcnt(2)
	v_pk_mul_f32 v[38:39], v[38:39], v[12:13] op_sel_hi:[0,1]
	s_waitcnt vmcnt(1)
	v_pk_mul_f32 v[6:7], v[6:7], v[18:19] op_sel_hi:[0,1]
	v_mov_b32_e32 v52, v15
	s_waitcnt vmcnt(0)
	v_mov_b32_e32 v53, v23
	v_mov_b32_e32 v56, v17
	;; [unrolled: 1-line block ×3, first 2 shown]
	v_mul_f32_e32 v11, v29, v15
	v_mul_f32_e32 v29, v36, v17
	;; [unrolled: 1-line block ×3, first 2 shown]
	v_mov_b32_e32 v48, v14
	v_mov_b32_e32 v49, v22
	;; [unrolled: 1-line block ×4, first 2 shown]
	v_mul_f32_e32 v3, v37, v21
	v_mul_f32_e32 v21, v5, v20
	;; [unrolled: 1-line block ×3, first 2 shown]
	v_pk_mul_f32 v[22:23], v[42:43], v[52:53]
	v_pk_mul_f32 v[36:37], v[46:47], v[56:57]
	v_fma_f32 v20, v42, v14, -v11
	v_pk_fma_f32 v[42:43], v[10:11], v[18:19], v[6:7] op_sel:[0,0,1] op_sel_hi:[0,1,0]
	v_pk_fma_f32 v[6:7], v[10:11], v[18:19], v[6:7] op_sel:[0,0,1] op_sel_hi:[0,1,0] neg_lo:[1,0,0] neg_hi:[1,0,0]
	v_pk_fma_f32 v[10:11], v[0:1], v[12:13], v[38:39] op_sel:[0,0,1] op_sel_hi:[1,1,0]
	v_pk_fma_f32 v[12:13], v[28:29], v[12:13], v[38:39] op_sel:[0,0,1] op_sel_hi:[0,1,0] neg_lo:[1,0,0] neg_hi:[1,0,0]
	v_fma_f32 v2, v4, v16, -v29
	v_pk_fma_f32 v[16:17], v[44:45], v[16:17], v[36:37]
	v_pk_fma_f32 v[28:29], v[44:45], v[54:55], v[36:37] neg_lo:[0,0,1] neg_hi:[0,0,1]
	v_pk_fma_f32 v[14:15], v[40:41], v[14:15], v[22:23]
	v_pk_fma_f32 v[22:23], v[40:41], v[48:49], v[22:23] neg_lo:[0,0,1] neg_hi:[0,0,1]
	v_mov_b32_e32 v4, v13
	v_mov_b32_e32 v0, v7
	v_pk_add_f32 v[18:19], v[20:21], v[2:3]
	v_mov_b32_e32 v43, v7
	v_mov_b32_e32 v11, v13
	;; [unrolled: 1-line block ×4, first 2 shown]
	v_pk_add_f32 v[0:1], v[4:5], v[0:1]
	v_mov_b32_e32 v3, v20
	v_mov_b32_e32 v7, v2
	v_pk_add_f32 v[12:13], v[10:11], v[42:43]
	v_mov_b32_e32 v6, v19
	v_mov_b32_e32 v20, v23
	v_pk_add_f32 v[22:23], v[14:15], v[16:17]
	v_mov_b32_e32 v2, v1
	v_pk_add_f32 v[10:11], v[10:11], v[42:43] neg_lo:[0,1] neg_hi:[0,1]
	v_mov_b32_e32 v4, v29
	v_mov_b32_e32 v21, v12
	v_pk_add_f32 v[2:3], v[2:3], v[6:7] neg_lo:[0,1] neg_hi:[0,1]
	v_mov_b32_e32 v5, v22
	v_pk_add_f32 v[14:15], v[14:15], v[16:17] neg_lo:[0,1] neg_hi:[0,1]
	v_mov_b32_e32 v17, v11
	v_pk_add_f32 v[36:37], v[18:19], v[0:1]
	v_mov_b32_e32 v16, v2
	v_pk_add_f32 v[4:5], v[4:5], v[20:21]
	v_mov_b32_e32 v28, v10
	v_mov_b32_e32 v29, v15
	;; [unrolled: 1-line block ×4, first 2 shown]
	v_pk_add_f32 v[16:17], v[16:17], v[14:15] neg_lo:[0,1] neg_hi:[0,1]
	v_pk_add_f32 v[36:37], v[36:37], v[4:5]
	v_mov_b32_e32 v5, v22
	v_pk_add_f32 v[6:7], v[14:15], v[2:3]
	v_pk_add_f32 v[28:29], v[28:29], v[2:3] neg_lo:[0,1] neg_hi:[0,1]
	v_mov_b32_e32 v15, v3
	v_pk_mul_f32 v[2:3], v[16:17], s[14:15]
	v_pk_add_f32 v[16:17], v[0:1], v[4:5] neg_lo:[0,1] neg_hi:[0,1]
	v_mov_b32_e32 v5, v12
	v_pk_add_f32 v[4:5], v[4:5], v[18:19] neg_lo:[0,1] neg_hi:[0,1]
	v_pk_add_f32 v[8:9], v[8:9], v[36:37]
	v_pk_mul_f32 v[4:5], v[4:5], s[18:19]
	v_pk_add_f32 v[6:7], v[6:7], v[10:11]
	v_pk_mul_f32 v[20:21], v[28:29], s[12:13]
	v_pk_add_f32 v[10:11], v[14:15], v[10:11] neg_lo:[0,1] neg_hi:[0,1]
	v_mov_b32_e32 v1, v12
	v_pk_mul_f32 v[12:13], v[16:17], s[24:25]
	v_pk_fma_f32 v[14:15], v[36:37], s[22:23], v[8:9] op_sel_hi:[1,0,1]
	v_pk_fma_f32 v[28:29], v[28:29], s[12:13], v[2:3]
	v_pk_fma_f32 v[16:17], v[16:17], s[24:25], v[4:5]
	v_mov_b32_e32 v19, v22
	v_pk_fma_f32 v[22:23], v[6:7], s[4:5], v[28:29] op_sel_hi:[1,0,1]
	v_pk_add_f32 v[16:17], v[16:17], v[14:15]
	v_pk_add_f32 v[0:1], v[18:19], v[0:1] neg_lo:[0,1] neg_hi:[0,1]
	v_pk_add_f32 v[18:19], v[16:17], v[22:23]
	v_pk_add_f32 v[16:17], v[16:17], v[22:23] neg_lo:[0,1] neg_hi:[0,1]
	v_mov_b32_e32 v22, v18
	v_mov_b32_e32 v23, v17
	;; [unrolled: 1-line block ×4, first 2 shown]
	ds_write2_b64 v35, v[8:9], v[22:23] offset0:68 offset1:146
	v_mov_b32_e32 v22, v20
	v_mov_b32_e32 v23, v3
	;; [unrolled: 1-line block ×4, first 2 shown]
	v_pk_fma_f32 v[8:9], v[0:1], s[20:21], v[28:29] op_sel_hi:[1,0,1] neg_lo:[1,0,1] neg_hi:[1,0,1]
	v_pk_fma_f32 v[22:23], v[10:11], s[16:17], v[22:23] op_sel_hi:[1,0,1] neg_lo:[1,0,1] neg_hi:[1,0,1]
	;; [unrolled: 1-line block ×4, first 2 shown]
	v_pk_add_f32 v[8:9], v[8:9], v[14:15]
	v_pk_fma_f32 v[22:23], v[6:7], s[4:5], v[22:23] op_sel_hi:[1,0,1]
	v_pk_fma_f32 v[2:3], v[6:7], s[4:5], v[2:3] op_sel_hi:[1,0,1]
	v_pk_add_f32 v[0:1], v[0:1], v[14:15]
	v_pk_add_f32 v[28:29], v[8:9], v[22:23]
	v_pk_add_f32 v[8:9], v[8:9], v[22:23] neg_lo:[0,1] neg_hi:[0,1]
	v_pk_add_f32 v[4:5], v[0:1], v[2:3] neg_lo:[0,1] neg_hi:[0,1]
	v_pk_add_f32 v[0:1], v[0:1], v[2:3]
	v_mov_b32_e32 v22, v28
	v_mov_b32_e32 v23, v9
	;; [unrolled: 1-line block ×4, first 2 shown]
	v_add_u32_e32 v1, 0x2400, v27
	ds_write2_b64 v1, v[22:23], v[2:3] offset0:96 offset1:174
	v_mov_b32_e32 v1, v5
	v_mov_b32_e32 v9, v29
	v_add_u32_e32 v2, 0x2800, v27
	v_mov_b32_e32 v17, v19
	ds_write2_b64 v2, v[0:1], v[8:9] offset0:124 offset1:202
	ds_write_b64 v27, v[16:17] offset:12480
.LBB0_25:
	s_or_b64 exec, exec, s[26:27]
	v_lshlrev_b32_e32 v0, 1, v34
	v_mov_b32_e32 v1, 0
	v_lshl_add_u64 v[6:7], v[0:1], 3, s[8:9]
	v_lshlrev_b32_e32 v0, 1, v25
	v_lshl_add_u64 v[2:3], v[0:1], 3, s[8:9]
	s_movk_i32 s4, 0x1000
	v_add_co_u32_e64 v2, s[2:3], s4, v2
	v_lshlrev_b32_e32 v0, 1, v26
	s_nop 0
	v_addc_co_u32_e64 v3, s[2:3], 0, v3, s[2:3]
	v_add_co_u32_e64 v6, s[2:3], s4, v6
	v_lshl_add_u64 v[10:11], v[0:1], 3, s[8:9]
	s_nop 0
	v_addc_co_u32_e64 v7, s[2:3], 0, v7, s[2:3]
	s_waitcnt lgkmcnt(0)
	s_barrier
	global_load_dwordx4 v[2:5], v[2:3], off offset:168
	v_add_co_u32_e64 v10, s[2:3], s4, v10
	global_load_dwordx4 v[6:9], v[6:7], off offset:168
	s_nop 0
	v_addc_co_u32_e64 v11, s[2:3], 0, v11, s[2:3]
	global_load_dwordx4 v[10:13], v[10:11], off offset:168
	v_add_u32_e32 v0, 0x1600, v186
	v_add_u32_e32 v25, 0x2000, v186
	ds_read2_b64 v[14:17], v186 offset1:182
	ds_read_b64 v[22:23], v50
	ds_read_b64 v[28:29], v51
	ds_read_b64 v[40:41], v186 offset:11648
	ds_read2_b64 v[18:21], v0 offset0:24 offset1:206
	ds_read2_b64 v[36:39], v25 offset0:68 offset1:250
	s_mov_b32 s2, 0x3f5db3d7
	v_add_u32_e32 v27, 0x1000, v186
	s_waitcnt lgkmcnt(0)
	s_barrier
	s_add_u32 s4, s8, 0x32c8
	s_addc_u32 s5, s9, 0
	s_waitcnt vmcnt(2)
	v_pk_mul_f32 v[42:43], v[2:3], v[18:19] op_sel:[0,1]
	v_pk_mul_f32 v[44:45], v[4:5], v[38:39] op_sel:[0,1]
	v_pk_fma_f32 v[52:53], v[2:3], v[18:19], v[42:43] op_sel:[0,0,1] op_sel_hi:[1,1,0] neg_lo:[0,0,1] neg_hi:[0,0,1]
	s_waitcnt vmcnt(1)
	v_pk_mul_f32 v[46:47], v[6:7], v[22:23] op_sel:[0,1]
	v_pk_mul_f32 v[48:49], v[8:9], v[36:37] op_sel:[0,1]
	v_pk_fma_f32 v[2:3], v[2:3], v[18:19], v[42:43] op_sel:[0,0,1] op_sel_hi:[1,0,0]
	v_pk_fma_f32 v[18:19], v[4:5], v[38:39], v[44:45] op_sel:[0,0,1] op_sel_hi:[1,1,0] neg_lo:[0,0,1] neg_hi:[0,0,1]
	v_pk_fma_f32 v[4:5], v[4:5], v[38:39], v[44:45] op_sel:[0,0,1] op_sel_hi:[1,0,0]
	s_waitcnt vmcnt(0)
	v_pk_mul_f32 v[38:39], v[10:11], v[20:21] op_sel:[0,1]
	v_mov_b32_e32 v0, v13
	v_pk_fma_f32 v[42:43], v[6:7], v[22:23], v[46:47] op_sel:[0,0,1] op_sel_hi:[1,1,0] neg_lo:[0,0,1] neg_hi:[0,0,1]
	v_pk_fma_f32 v[6:7], v[6:7], v[22:23], v[46:47] op_sel:[0,0,1] op_sel_hi:[1,0,0]
	v_pk_fma_f32 v[22:23], v[8:9], v[36:37], v[48:49] op_sel:[0,0,1] op_sel_hi:[1,1,0] neg_lo:[0,0,1] neg_hi:[0,0,1]
	v_pk_fma_f32 v[8:9], v[8:9], v[36:37], v[48:49] op_sel:[0,0,1] op_sel_hi:[1,0,0]
	v_mov_b32_e32 v53, v3
	v_mov_b32_e32 v19, v5
	v_pk_fma_f32 v[2:3], v[10:11], v[20:21], v[38:39] op_sel:[0,0,1] op_sel_hi:[1,1,0] neg_lo:[0,0,1] neg_hi:[0,0,1]
	v_pk_fma_f32 v[4:5], v[10:11], v[20:21], v[38:39] op_sel:[0,0,1] op_sel_hi:[1,0,0]
	v_pk_mul_f32 v[10:11], v[40:41], v[0:1] op_sel_hi:[1,0]
	v_mov_b32_e32 v43, v7
	v_mov_b32_e32 v23, v9
	v_pk_add_f32 v[6:7], v[16:17], v[52:53]
	v_mov_b32_e32 v3, v5
	v_pk_fma_f32 v[4:5], v[40:41], v[12:13], v[10:11] op_sel:[0,0,1] op_sel_hi:[1,1,0] neg_lo:[0,0,1] neg_hi:[0,0,1]
	v_pk_fma_f32 v[8:9], v[40:41], v[12:13], v[10:11] op_sel:[0,0,1] op_sel_hi:[1,0,0]
	v_pk_add_f32 v[10:11], v[52:53], v[18:19]
	v_pk_add_f32 v[12:13], v[52:53], v[18:19] neg_lo:[0,1] neg_hi:[0,1]
	v_pk_add_f32 v[6:7], v[6:7], v[18:19]
	v_pk_add_f32 v[18:19], v[42:43], v[22:23]
	v_pk_add_f32 v[36:37], v[42:43], v[22:23] neg_lo:[0,1] neg_hi:[0,1]
	v_pk_add_f32 v[20:21], v[14:15], v[42:43]
	v_pk_fma_f32 v[10:11], v[10:11], 0.5, v[16:17] op_sel_hi:[1,0,1] neg_lo:[1,0,0] neg_hi:[1,0,0]
	v_pk_mul_f32 v[12:13], v[12:13], s[2:3] op_sel_hi:[1,0]
	v_pk_fma_f32 v[14:15], v[18:19], 0.5, v[14:15] op_sel_hi:[1,0,1] neg_lo:[1,0,0] neg_hi:[1,0,0]
	v_pk_mul_f32 v[18:19], v[36:37], s[2:3] op_sel_hi:[1,0]
	v_mov_b32_e32 v5, v9
	v_pk_add_f32 v[16:17], v[20:21], v[22:23]
	v_pk_add_f32 v[20:21], v[10:11], v[12:13] op_sel:[0,1] op_sel_hi:[1,0]
	v_pk_add_f32 v[10:11], v[10:11], v[12:13] op_sel:[0,1] op_sel_hi:[1,0] neg_lo:[0,1] neg_hi:[0,1]
	v_pk_add_f32 v[22:23], v[14:15], v[18:19] op_sel:[0,1] op_sel_hi:[1,0]
	v_pk_add_f32 v[14:15], v[14:15], v[18:19] op_sel:[0,1] op_sel_hi:[1,0] neg_lo:[0,1] neg_hi:[0,1]
	v_pk_add_f32 v[8:9], v[28:29], v[2:3]
	v_pk_add_f32 v[12:13], v[2:3], v[4:5]
	ds_write2_b64 v186, v[16:17], v[6:7] offset1:182
	v_mov_b32_e32 v6, v20
	v_mov_b32_e32 v7, v11
	;; [unrolled: 1-line block ×4, first 2 shown]
	v_pk_add_f32 v[2:3], v[2:3], v[4:5] neg_lo:[0,1] neg_hi:[0,1]
	v_pk_add_f32 v[8:9], v[8:9], v[4:5]
	v_mov_b32_e32 v11, v21
	v_mov_b32_e32 v15, v23
	ds_write2_b64 v27, v[16:17], v[6:7] offset0:34 offset1:216
	ds_write2_b64 v25, v[14:15], v[10:11] offset0:68 offset1:250
	ds_write_b64 v51, v[8:9]
	v_pk_fma_f32 v[6:7], v[12:13], 0.5, v[28:29] op_sel_hi:[1,0,1] neg_lo:[1,0,0] neg_hi:[1,0,0]
	v_pk_mul_f32 v[2:3], v[2:3], s[2:3] op_sel_hi:[1,0]
	v_lshlrev_b32_e32 v0, 3, v34
	v_pk_add_f32 v[4:5], v[6:7], v[2:3] op_sel:[0,1] op_sel_hi:[1,0]
	v_pk_add_f32 v[2:3], v[6:7], v[2:3] op_sel:[0,1] op_sel_hi:[1,0] neg_lo:[0,1] neg_hi:[0,1]
	v_mov_b32_e32 v6, v4
	v_mov_b32_e32 v7, v3
	;; [unrolled: 1-line block ×3, first 2 shown]
	ds_write_b64 v51, v[6:7] offset:4368
	ds_write_b64 v51, v[2:3] offset:8736
	s_waitcnt lgkmcnt(0)
	s_barrier
	ds_read_b64 v[6:7], v186
	v_sub_u32_e32 v10, 0, v0
	v_cmp_ne_u32_e64 s[2:3], 0, v34
                                        ; implicit-def: $vgpr4_vgpr5
                                        ; implicit-def: $vgpr3
                                        ; implicit-def: $vgpr8_vgpr9
	s_and_saveexec_b64 s[8:9], s[2:3]
	s_xor_b64 s[2:3], exec, s[8:9]
	s_cbranch_execz .LBB0_27
; %bb.26:
	v_mov_b32_e32 v35, v1
	v_lshl_add_u64 v[0:1], v[34:35], 3, s[4:5]
	global_load_dwordx2 v[0:1], v[0:1], off
	ds_read_b64 v[2:3], v10 offset:13104
	v_mov_b32_e32 v5, 0.5
	v_mov_b32_e32 v8, v5
	s_waitcnt lgkmcnt(0)
	v_pk_add_f32 v[12:13], v[2:3], v[6:7]
	v_pk_add_f32 v[2:3], v[6:7], v[2:3] neg_lo:[0,1] neg_hi:[0,1]
	v_mov_b32_e32 v6, v13
	v_mov_b32_e32 v7, v2
	v_pk_mul_f32 v[6:7], v[6:7], 0.5 op_sel_hi:[1,0]
	s_waitcnt vmcnt(0)
	v_mov_b32_e32 v4, v1
	v_mov_b32_e32 v2, v7
	v_mov_b32_e32 v13, v6
	v_mov_b32_e32 v9, v1
	v_pk_mul_f32 v[2:3], v[4:5], v[2:3]
	v_pk_mul_f32 v[14:15], v[0:1], v[6:7] op_sel_hi:[0,1]
	v_pk_fma_f32 v[4:5], v[12:13], v[8:9], v[2:3]
	v_pk_fma_f32 v[8:9], v[12:13], v[8:9], v[2:3] neg_lo:[0,0,1] neg_hi:[0,0,1]
	v_add_f32_e32 v2, v14, v4
	v_sub_f32_e32 v3, v5, v15
	v_pk_fma_f32 v[4:5], v[0:1], v[6:7], v[8:9] op_sel_hi:[0,1,1] neg_lo:[1,0,0] neg_hi:[1,0,0]
	ds_write_b32 v186, v2
	v_mov_b64_e32 v[8:9], v[34:35]
                                        ; implicit-def: $vgpr6_vgpr7
.LBB0_27:
	s_andn2_saveexec_b64 s[2:3], s[2:3]
	s_cbranch_execz .LBB0_29
; %bb.28:
	s_waitcnt lgkmcnt(0)
	v_mov_b32_e32 v0, v7
	v_pk_add_f32 v[2:3], v[6:7], v[0:1] neg_lo:[0,1] neg_hi:[0,1]
	v_add_f32_e32 v1, v7, v6
	v_mov_b32_e32 v3, 0
	ds_read_b32 v0, v3 offset:6556
	v_mov_b64_e32 v[8:9], 0
	v_mov_b64_e32 v[4:5], v[2:3]
	ds_write_b32 v186, v1
	s_waitcnt lgkmcnt(1)
	v_xor_b32_e32 v0, 0x80000000, v0
	ds_write_b32 v3, v0 offset:6556
.LBB0_29:
	s_or_b64 exec, exec, s[2:3]
	v_lshl_add_u64 v[0:1], v[8:9], 3, s[4:5]
	s_waitcnt lgkmcnt(0)
	global_load_dwordx2 v[6:7], v[0:1], off offset:1456
	v_mov_b32_e32 v27, 0
	v_lshl_add_u64 v[8:9], v[26:27], 3, s[4:5]
	global_load_dwordx2 v[8:9], v[8:9], off
	v_mov_b32_e32 v25, v27
	v_lshl_add_u64 v[12:13], v[24:25], 3, s[4:5]
	global_load_dwordx2 v[12:13], v[12:13], off
	ds_write_b32 v186, v3 offset:4
	ds_write_b64 v10, v[4:5] offset:13104
	ds_read_b64 v[4:5], v186 offset:1456
	ds_read_b64 v[14:15], v10 offset:11648
	v_mov_b32_e32 v3, 0.5
	v_mov_b32_e32 v16, v3
	s_waitcnt lgkmcnt(0)
	v_pk_add_f32 v[18:19], v[4:5], v[14:15]
	v_pk_add_f32 v[4:5], v[4:5], v[14:15] neg_lo:[0,1] neg_hi:[0,1]
	v_mov_b32_e32 v14, v19
	v_mov_b32_e32 v15, v4
	v_pk_mul_f32 v[14:15], v[14:15], 0.5 op_sel_hi:[1,0]
	s_waitcnt vmcnt(2)
	v_mov_b32_e32 v2, v7
	v_mov_b32_e32 v4, v15
	;; [unrolled: 1-line block ×4, first 2 shown]
	v_pk_mul_f32 v[4:5], v[2:3], v[4:5]
	s_waitcnt vmcnt(1)
	v_mov_b32_e32 v2, v9
	v_pk_fma_f32 v[20:21], v[18:19], v[16:17], v[4:5]
	v_pk_fma_f32 v[4:5], v[18:19], v[16:17], v[4:5] neg_lo:[0,0,1] neg_hi:[0,0,1]
	v_pk_fma_f32 v[16:17], v[6:7], v[14:15], v[20:21]
	v_pk_fma_f32 v[18:19], v[6:7], v[14:15], v[20:21] op_sel_hi:[0,1,1] neg_lo:[1,0,0] neg_hi:[1,0,0]
	v_mov_b32_e32 v17, v19
	v_pk_fma_f32 v[4:5], v[6:7], v[14:15], v[4:5] op_sel_hi:[0,1,1] neg_lo:[1,0,0] neg_hi:[1,0,0]
	ds_write_b64 v186, v[16:17] offset:1456
	ds_write_b64 v10, v[4:5] offset:11648
	ds_read_b64 v[4:5], v51
	ds_read_b64 v[6:7], v10 offset:10192
	v_mov_b32_e32 v14, v3
	v_mov_b32_e32 v15, v9
	s_waitcnt lgkmcnt(0)
	v_pk_add_f32 v[16:17], v[4:5], v[6:7]
	v_pk_add_f32 v[4:5], v[4:5], v[6:7] neg_lo:[0,1] neg_hi:[0,1]
	v_mov_b32_e32 v6, v17
	v_mov_b32_e32 v7, v4
	v_pk_mul_f32 v[6:7], v[6:7], 0.5 op_sel_hi:[1,0]
	s_nop 0
	v_mov_b32_e32 v4, v7
	v_mov_b32_e32 v17, v6
	v_pk_mul_f32 v[4:5], v[2:3], v[4:5]
	s_waitcnt vmcnt(0)
	v_mov_b32_e32 v2, v13
	v_pk_fma_f32 v[18:19], v[16:17], v[14:15], v[4:5]
	v_pk_fma_f32 v[4:5], v[16:17], v[14:15], v[4:5] neg_lo:[0,0,1] neg_hi:[0,0,1]
	v_pk_fma_f32 v[14:15], v[8:9], v[6:7], v[18:19]
	v_pk_fma_f32 v[16:17], v[8:9], v[6:7], v[18:19] op_sel_hi:[0,1,1] neg_lo:[1,0,0] neg_hi:[1,0,0]
	v_mov_b32_e32 v15, v17
	v_pk_fma_f32 v[4:5], v[8:9], v[6:7], v[4:5] op_sel_hi:[0,1,1] neg_lo:[1,0,0] neg_hi:[1,0,0]
	ds_write_b64 v51, v[14:15]
	ds_write_b64 v10, v[4:5] offset:10192
	ds_read_b64 v[4:5], v50
	ds_read_b64 v[6:7], v10 offset:8736
	v_mov_b32_e32 v8, v3
	v_mov_b32_e32 v9, v13
	s_waitcnt lgkmcnt(0)
	v_pk_add_f32 v[14:15], v[4:5], v[6:7]
	v_pk_add_f32 v[4:5], v[4:5], v[6:7] neg_lo:[0,1] neg_hi:[0,1]
	v_mov_b32_e32 v6, v15
	v_mov_b32_e32 v7, v4
	v_pk_mul_f32 v[6:7], v[6:7], 0.5 op_sel_hi:[1,0]
	s_nop 0
	v_mov_b32_e32 v4, v7
	v_mov_b32_e32 v15, v6
	v_pk_mul_f32 v[4:5], v[2:3], v[4:5]
	s_nop 0
	v_pk_fma_f32 v[16:17], v[14:15], v[8:9], v[4:5]
	v_pk_fma_f32 v[4:5], v[14:15], v[8:9], v[4:5] neg_lo:[0,0,1] neg_hi:[0,0,1]
	v_pk_fma_f32 v[8:9], v[12:13], v[6:7], v[16:17]
	v_pk_fma_f32 v[14:15], v[12:13], v[6:7], v[16:17] op_sel_hi:[0,1,1] neg_lo:[1,0,0] neg_hi:[1,0,0]
	v_mov_b32_e32 v9, v15
	v_pk_fma_f32 v[4:5], v[12:13], v[6:7], v[4:5] op_sel_hi:[0,1,1] neg_lo:[1,0,0] neg_hi:[1,0,0]
	ds_write_b64 v50, v[8:9]
	ds_write_b64 v10, v[4:5] offset:8736
	s_and_saveexec_b64 s[2:3], vcc
	s_cbranch_execz .LBB0_31
; %bb.30:
	v_add_co_u32_e32 v0, vcc, 0x1000, v0
	v_mov_b32_e32 v8, v3
	s_nop 0
	v_addc_co_u32_e32 v1, vcc, 0, v1, vcc
	global_load_dwordx2 v[0:1], v[0:1], off offset:1728
	ds_read_b64 v[4:5], v186 offset:5824
	ds_read_b64 v[6:7], v10 offset:7280
	s_waitcnt lgkmcnt(0)
	v_pk_add_f32 v[12:13], v[4:5], v[6:7]
	v_pk_add_f32 v[4:5], v[4:5], v[6:7] neg_lo:[0,1] neg_hi:[0,1]
	v_mov_b32_e32 v6, v13
	v_mov_b32_e32 v7, v4
	v_pk_mul_f32 v[6:7], v[6:7], 0.5 op_sel_hi:[1,0]
	s_waitcnt vmcnt(0)
	v_mov_b32_e32 v2, v1
	v_mov_b32_e32 v4, v7
	;; [unrolled: 1-line block ×4, first 2 shown]
	v_pk_mul_f32 v[2:3], v[2:3], v[4:5]
	s_nop 0
	v_pk_fma_f32 v[4:5], v[12:13], v[8:9], v[2:3]
	v_pk_fma_f32 v[2:3], v[12:13], v[8:9], v[2:3] neg_lo:[0,0,1] neg_hi:[0,0,1]
	v_pk_fma_f32 v[8:9], v[0:1], v[6:7], v[4:5]
	v_pk_fma_f32 v[4:5], v[0:1], v[6:7], v[4:5] op_sel_hi:[0,1,1] neg_lo:[1,0,0] neg_hi:[1,0,0]
	v_mov_b32_e32 v9, v5
	v_pk_fma_f32 v[0:1], v[0:1], v[6:7], v[2:3] op_sel_hi:[0,1,1] neg_lo:[1,0,0] neg_hi:[1,0,0]
	ds_write_b64 v186, v[8:9] offset:5824
	ds_write_b64 v10, v[0:1] offset:7280
.LBB0_31:
	s_or_b64 exec, exec, s[2:3]
	s_waitcnt lgkmcnt(0)
	s_barrier
	s_and_saveexec_b64 s[2:3], s[0:1]
	s_cbranch_execz .LBB0_34
; %bb.32:
	v_mul_lo_u32 v2, s11, v32
	v_mul_lo_u32 v3, s10, v33
	v_mad_u64_u32 v[0:1], s[0:1], s10, v32, 0
	v_lshl_add_u32 v10, v34, 3, 0
	v_add3_u32 v1, v1, v3, v2
	ds_read2_b64 v[2:5], v10 offset1:182
	v_lshl_add_u64 v[0:1], v[0:1], 3, s[6:7]
	v_mov_b32_e32 v35, 0
	v_lshl_add_u64 v[0:1], v[30:31], 3, v[0:1]
	v_lshl_add_u64 v[6:7], v[34:35], 3, v[0:1]
	s_waitcnt lgkmcnt(0)
	global_store_dwordx2 v[6:7], v[2:3], off
	v_add_u32_e32 v6, 0xa00, v10
	ds_read2_b64 v[6:9], v6 offset0:44 offset1:226
	v_add_u32_e32 v2, 0xb6, v34
	v_mov_b32_e32 v3, v35
	v_lshl_add_u64 v[2:3], v[2:3], 3, v[0:1]
	global_store_dwordx2 v[2:3], v[4:5], off
	v_add_u32_e32 v2, 0x16c, v34
	v_mov_b32_e32 v3, v35
	v_lshl_add_u64 v[2:3], v[2:3], 3, v[0:1]
	s_waitcnt lgkmcnt(0)
	global_store_dwordx2 v[2:3], v[6:7], off
	v_add_u32_e32 v2, 0x222, v34
	v_mov_b32_e32 v3, v35
	v_lshl_add_u64 v[6:7], v[2:3], 3, v[0:1]
	v_add_u32_e32 v2, 0x1600, v10
	ds_read2_b64 v[2:5], v2 offset0:24 offset1:206
	global_store_dwordx2 v[6:7], v[8:9], off
	v_add_u32_e32 v6, 0x2d8, v34
	v_mov_b32_e32 v7, v35
	v_lshl_add_u64 v[6:7], v[6:7], 3, v[0:1]
	s_waitcnt lgkmcnt(0)
	global_store_dwordx2 v[6:7], v[2:3], off
	v_add_u32_e32 v6, 0x2000, v10
	ds_read2_b64 v[6:9], v6 offset0:68 offset1:250
	v_add_u32_e32 v2, 0x38e, v34
	v_mov_b32_e32 v3, v35
	v_lshl_add_u64 v[2:3], v[2:3], 3, v[0:1]
	global_store_dwordx2 v[2:3], v[4:5], off
	v_add_u32_e32 v2, 0x444, v34
	v_mov_b32_e32 v3, v35
	v_lshl_add_u64 v[2:3], v[2:3], 3, v[0:1]
	ds_read_b64 v[4:5], v10 offset:11648
	s_waitcnt lgkmcnt(1)
	global_store_dwordx2 v[2:3], v[6:7], off
	v_add_u32_e32 v2, 0x4fa, v34
	v_mov_b32_e32 v3, v35
	v_lshl_add_u64 v[2:3], v[2:3], 3, v[0:1]
	global_store_dwordx2 v[2:3], v[8:9], off
	v_add_u32_e32 v2, 0x5b0, v34
	v_mov_b32_e32 v3, v35
	s_movk_i32 s0, 0xb5
	v_lshl_add_u64 v[2:3], v[2:3], 3, v[0:1]
	v_cmp_eq_u32_e32 vcc, s0, v34
	s_waitcnt lgkmcnt(0)
	global_store_dwordx2 v[2:3], v[4:5], off
	s_and_b64 exec, exec, vcc
	s_cbranch_execz .LBB0_34
; %bb.33:
	ds_read_b64 v[2:3], v35 offset:13104
	v_add_co_u32_e32 v0, vcc, 0x3000, v0
	s_nop 1
	v_addc_co_u32_e32 v1, vcc, 0, v1, vcc
	s_waitcnt lgkmcnt(0)
	global_store_dwordx2 v[0:1], v[2:3], off offset:816
.LBB0_34:
	s_endpgm
	.section	.rodata,"a",@progbits
	.p2align	6, 0x0
	.amdhsa_kernel fft_rtc_fwd_len1638_factors_13_2_3_7_3_wgs_182_tpt_182_halfLds_sp_op_CI_CI_unitstride_sbrr_R2C_dirReg
		.amdhsa_group_segment_fixed_size 0
		.amdhsa_private_segment_fixed_size 0
		.amdhsa_kernarg_size 104
		.amdhsa_user_sgpr_count 2
		.amdhsa_user_sgpr_dispatch_ptr 0
		.amdhsa_user_sgpr_queue_ptr 0
		.amdhsa_user_sgpr_kernarg_segment_ptr 1
		.amdhsa_user_sgpr_dispatch_id 0
		.amdhsa_user_sgpr_kernarg_preload_length 0
		.amdhsa_user_sgpr_kernarg_preload_offset 0
		.amdhsa_user_sgpr_private_segment_size 0
		.amdhsa_uses_dynamic_stack 0
		.amdhsa_enable_private_segment 0
		.amdhsa_system_sgpr_workgroup_id_x 1
		.amdhsa_system_sgpr_workgroup_id_y 0
		.amdhsa_system_sgpr_workgroup_id_z 0
		.amdhsa_system_sgpr_workgroup_info 0
		.amdhsa_system_vgpr_workitem_id 0
		.amdhsa_next_free_vgpr 192
		.amdhsa_next_free_sgpr 42
		.amdhsa_accum_offset 192
		.amdhsa_reserve_vcc 1
		.amdhsa_float_round_mode_32 0
		.amdhsa_float_round_mode_16_64 0
		.amdhsa_float_denorm_mode_32 3
		.amdhsa_float_denorm_mode_16_64 3
		.amdhsa_dx10_clamp 1
		.amdhsa_ieee_mode 1
		.amdhsa_fp16_overflow 0
		.amdhsa_tg_split 0
		.amdhsa_exception_fp_ieee_invalid_op 0
		.amdhsa_exception_fp_denorm_src 0
		.amdhsa_exception_fp_ieee_div_zero 0
		.amdhsa_exception_fp_ieee_overflow 0
		.amdhsa_exception_fp_ieee_underflow 0
		.amdhsa_exception_fp_ieee_inexact 0
		.amdhsa_exception_int_div_zero 0
	.end_amdhsa_kernel
	.text
.Lfunc_end0:
	.size	fft_rtc_fwd_len1638_factors_13_2_3_7_3_wgs_182_tpt_182_halfLds_sp_op_CI_CI_unitstride_sbrr_R2C_dirReg, .Lfunc_end0-fft_rtc_fwd_len1638_factors_13_2_3_7_3_wgs_182_tpt_182_halfLds_sp_op_CI_CI_unitstride_sbrr_R2C_dirReg
                                        ; -- End function
	.section	.AMDGPU.csdata,"",@progbits
; Kernel info:
; codeLenInByte = 9640
; NumSgprs: 48
; NumVgprs: 192
; NumAgprs: 0
; TotalNumVgprs: 192
; ScratchSize: 0
; MemoryBound: 0
; FloatMode: 240
; IeeeMode: 1
; LDSByteSize: 0 bytes/workgroup (compile time only)
; SGPRBlocks: 5
; VGPRBlocks: 23
; NumSGPRsForWavesPerEU: 48
; NumVGPRsForWavesPerEU: 192
; AccumOffset: 192
; Occupancy: 2
; WaveLimiterHint : 1
; COMPUTE_PGM_RSRC2:SCRATCH_EN: 0
; COMPUTE_PGM_RSRC2:USER_SGPR: 2
; COMPUTE_PGM_RSRC2:TRAP_HANDLER: 0
; COMPUTE_PGM_RSRC2:TGID_X_EN: 1
; COMPUTE_PGM_RSRC2:TGID_Y_EN: 0
; COMPUTE_PGM_RSRC2:TGID_Z_EN: 0
; COMPUTE_PGM_RSRC2:TIDIG_COMP_CNT: 0
; COMPUTE_PGM_RSRC3_GFX90A:ACCUM_OFFSET: 47
; COMPUTE_PGM_RSRC3_GFX90A:TG_SPLIT: 0
	.text
	.p2alignl 6, 3212836864
	.fill 256, 4, 3212836864
	.type	__hip_cuid_2411608a96c24289,@object ; @__hip_cuid_2411608a96c24289
	.section	.bss,"aw",@nobits
	.globl	__hip_cuid_2411608a96c24289
__hip_cuid_2411608a96c24289:
	.byte	0                               ; 0x0
	.size	__hip_cuid_2411608a96c24289, 1

	.ident	"AMD clang version 19.0.0git (https://github.com/RadeonOpenCompute/llvm-project roc-6.4.0 25133 c7fe45cf4b819c5991fe208aaa96edf142730f1d)"
	.section	".note.GNU-stack","",@progbits
	.addrsig
	.addrsig_sym __hip_cuid_2411608a96c24289
	.amdgpu_metadata
---
amdhsa.kernels:
  - .agpr_count:     0
    .args:
      - .actual_access:  read_only
        .address_space:  global
        .offset:         0
        .size:           8
        .value_kind:     global_buffer
      - .offset:         8
        .size:           8
        .value_kind:     by_value
      - .actual_access:  read_only
        .address_space:  global
        .offset:         16
        .size:           8
        .value_kind:     global_buffer
      - .actual_access:  read_only
        .address_space:  global
        .offset:         24
        .size:           8
        .value_kind:     global_buffer
      - .actual_access:  read_only
        .address_space:  global
        .offset:         32
        .size:           8
        .value_kind:     global_buffer
      - .offset:         40
        .size:           8
        .value_kind:     by_value
      - .actual_access:  read_only
        .address_space:  global
        .offset:         48
        .size:           8
        .value_kind:     global_buffer
      - .actual_access:  read_only
        .address_space:  global
        .offset:         56
        .size:           8
        .value_kind:     global_buffer
      - .offset:         64
        .size:           4
        .value_kind:     by_value
      - .actual_access:  read_only
        .address_space:  global
        .offset:         72
        .size:           8
        .value_kind:     global_buffer
      - .actual_access:  read_only
        .address_space:  global
        .offset:         80
        .size:           8
        .value_kind:     global_buffer
      - .actual_access:  read_only
        .address_space:  global
        .offset:         88
        .size:           8
        .value_kind:     global_buffer
      - .actual_access:  write_only
        .address_space:  global
        .offset:         96
        .size:           8
        .value_kind:     global_buffer
    .group_segment_fixed_size: 0
    .kernarg_segment_align: 8
    .kernarg_segment_size: 104
    .language:       OpenCL C
    .language_version:
      - 2
      - 0
    .max_flat_workgroup_size: 182
    .name:           fft_rtc_fwd_len1638_factors_13_2_3_7_3_wgs_182_tpt_182_halfLds_sp_op_CI_CI_unitstride_sbrr_R2C_dirReg
    .private_segment_fixed_size: 0
    .sgpr_count:     48
    .sgpr_spill_count: 0
    .symbol:         fft_rtc_fwd_len1638_factors_13_2_3_7_3_wgs_182_tpt_182_halfLds_sp_op_CI_CI_unitstride_sbrr_R2C_dirReg.kd
    .uniform_work_group_size: 1
    .uses_dynamic_stack: false
    .vgpr_count:     192
    .vgpr_spill_count: 0
    .wavefront_size: 64
amdhsa.target:   amdgcn-amd-amdhsa--gfx950
amdhsa.version:
  - 1
  - 2
...

	.end_amdgpu_metadata
